;; amdgpu-corpus repo=ROCm/rocFFT kind=compiled arch=gfx1201 opt=O3
	.text
	.amdgcn_target "amdgcn-amd-amdhsa--gfx1201"
	.amdhsa_code_object_version 6
	.protected	fft_rtc_back_len169_factors_13_13_wgs_156_tpt_13_dp_op_CI_CI_sbrc_z_xy_unaligned_dirReg ; -- Begin function fft_rtc_back_len169_factors_13_13_wgs_156_tpt_13_dp_op_CI_CI_sbrc_z_xy_unaligned_dirReg
	.globl	fft_rtc_back_len169_factors_13_13_wgs_156_tpt_13_dp_op_CI_CI_sbrc_z_xy_unaligned_dirReg
	.p2align	8
	.type	fft_rtc_back_len169_factors_13_13_wgs_156_tpt_13_dp_op_CI_CI_sbrc_z_xy_unaligned_dirReg,@function
fft_rtc_back_len169_factors_13_13_wgs_156_tpt_13_dp_op_CI_CI_sbrc_z_xy_unaligned_dirReg: ; @fft_rtc_back_len169_factors_13_13_wgs_156_tpt_13_dp_op_CI_CI_sbrc_z_xy_unaligned_dirReg
; %bb.0:
	s_load_b256 s[4:11], s[0:1], 0x8
	s_wait_kmcnt 0x0
	s_load_b128 s[12:15], s[6:7], 0x8
	s_wait_kmcnt 0x0
	s_add_co_i32 s2, s12, -1
	s_delay_alu instid0(SALU_CYCLE_1) | instskip(NEXT) | instid1(SALU_CYCLE_1)
	s_mul_hi_u32 s2, s2, 0xaaaaaaab
	s_lshr_b32 s2, s2, 3
	s_delay_alu instid0(SALU_CYCLE_1) | instskip(NEXT) | instid1(SALU_CYCLE_1)
	s_add_co_i32 s3, s2, 1
	s_mul_i32 s6, s3, s14
	s_cvt_f32_u32 s13, s3
	s_cvt_f32_u32 s7, s6
	s_sub_co_i32 s14, 0, s6
	s_delay_alu instid0(SALU_CYCLE_2) | instskip(NEXT) | instid1(TRANS32_DEP_1)
	v_rcp_iflag_f32_e32 v1, s7
	v_readfirstlane_b32 s7, v1
	v_rcp_iflag_f32_e32 v1, s13
	s_delay_alu instid0(VALU_DEP_1) | instskip(SKIP_1) | instid1(SALU_CYCLE_2)
	s_mul_f32 s7, s7, 0x4f7ffffe
	s_wait_alu 0xfffe
	s_cvt_u32_f32 s7, s7
	s_wait_alu 0xfffe
	s_delay_alu instid0(SALU_CYCLE_2) | instskip(NEXT) | instid1(SALU_CYCLE_1)
	s_mul_i32 s14, s14, s7
	s_mul_hi_u32 s13, s7, s14
	s_delay_alu instid0(TRANS32_DEP_1)
	v_readfirstlane_b32 s14, v1
	s_wait_alu 0xfffe
	s_add_co_i32 s7, s7, s13
	s_wait_alu 0xfffe
	s_mul_hi_u32 s7, ttmp9, s7
	s_mul_f32 s14, s14, 0x4f7ffffe
	s_wait_alu 0xfffe
	s_mul_i32 s13, s7, s6
	s_add_co_i32 s15, s7, 1
	s_wait_alu 0xfffe
	s_sub_co_i32 s13, ttmp9, s13
	s_wait_alu 0xfffe
	s_sub_co_i32 s16, s13, s6
	s_cmp_ge_u32 s13, s6
	s_cselect_b32 s7, s15, s7
	s_cselect_b32 s13, s16, s13
	s_wait_alu 0xfffe
	s_add_co_i32 s15, s7, 1
	s_cmp_ge_u32 s13, s6
	s_cvt_u32_f32 s13, s14
	s_cselect_b32 s14, s15, s7
	s_not_b32 s2, s2
	s_mul_i32 s6, s14, s6
	s_wait_alu 0xfffe
	s_mul_i32 s2, s2, s13
	s_sub_co_i32 s6, ttmp9, s6
	s_mul_hi_u32 s2, s13, s2
	s_load_b128 s[16:19], s[8:9], 0x0
	s_add_co_i32 s13, s13, s2
	s_wait_alu 0xfffe
	s_mul_hi_u32 s2, s6, s13
	s_mul_hi_u32 s13, ttmp9, s13
	s_mul_i32 s7, s2, s3
	s_wait_alu 0xfffe
	s_mul_i32 s13, s13, s3
	s_sub_co_i32 s6, s6, s7
	s_add_co_i32 s7, s2, 1
	s_wait_alu 0xfffe
	s_sub_co_i32 s15, s6, s3
	s_cmp_ge_u32 s6, s3
	s_cselect_b32 s2, s7, s2
	s_cselect_b32 s6, s15, s6
	s_add_co_i32 s7, s2, 1
	s_wait_alu 0xfffe
	s_cmp_ge_u32 s6, s3
	s_mov_b32 s15, 0
	s_cselect_b32 s33, s7, s2
	s_sub_co_i32 s2, ttmp9, s13
	s_load_b32 s13, s[8:9], 0x10
	s_sub_co_i32 s6, s2, s3
	s_cmp_ge_u32 s2, s3
	s_mov_b32 s25, s15
	s_wait_alu 0xfffe
	s_cselect_b32 s2, s6, s2
	s_delay_alu instid0(SALU_CYCLE_1)
	s_sub_co_i32 s6, s2, s3
	s_cmp_ge_u32 s2, s3
	s_wait_kmcnt 0x0
	s_wait_alu 0xfffe
	s_cselect_b32 s19, s6, s2
	s_lshl_b64 s[2:3], s[4:5], 3
	s_delay_alu instid0(SALU_CYCLE_1)
	s_add_nc_u64 s[4:5], s[8:9], s[2:3]
	s_load_b64 s[22:23], s[4:5], 0x0
	s_load_b64 s[20:21], s[0:1], 0x58
	s_load_b128 s[4:7], s[10:11], 0x0
	s_add_nc_u64 s[8:9], s[10:11], s[2:3]
	s_clause 0x1
	s_load_b64 s[2:3], s[10:11], 0x10
	s_load_b64 s[8:9], s[8:9], 0x0
	s_mul_i32 s10, s19, 12
	s_wait_kmcnt 0x0
	s_mov_b32 s7, -1
	s_mul_i32 s11, s10, s18
	s_mul_i32 s3, s33, s13
	s_add_co_i32 s13, s10, 12
	s_add_co_i32 s24, s11, s3
	s_wait_alu 0xfffe
	s_cmp_le_u32 s13, s12
	s_cselect_b32 s3, -1, 0
	s_delay_alu instid0(SALU_CYCLE_1) | instskip(SKIP_1) | instid1(SALU_CYCLE_1)
	s_and_b32 vcc_lo, exec_lo, s3
	s_mul_u64 s[22:23], s[22:23], s[14:15]
	s_add_nc_u64 s[22:23], s[22:23], s[24:25]
	s_cbranch_vccnz .LBB0_4
; %bb.1:
	v_dual_mov_b32 v2, 0 :: v_dual_mov_b32 v3, v0
	s_lshl_b64 s[24:25], s[22:23], 4
	s_mov_b32 s7, s15
	s_add_nc_u64 s[24:25], s[20:21], s[24:25]
.LBB0_2:                                ; =>This Inner Loop Header: Depth=1
	s_delay_alu instid0(VALU_DEP_1) | instskip(NEXT) | instid1(VALU_DEP_1)
	v_and_b32_e32 v1, 0xffff, v3
	v_mul_u32_u24_e32 v1, 0xc1e5, v1
	s_delay_alu instid0(VALU_DEP_1) | instskip(NEXT) | instid1(VALU_DEP_1)
	v_lshrrev_b32_e32 v8, 23, v1
	v_mul_lo_u16 v1, 0xa9, v8
	s_delay_alu instid0(VALU_DEP_1) | instskip(SKIP_1) | instid1(VALU_DEP_2)
	v_sub_nc_u16 v9, v3, v1
	v_add_nc_u32_e32 v3, 0x9c, v3
	v_and_b32_e32 v6, 0xffff, v9
	s_delay_alu instid0(VALU_DEP_1) | instskip(NEXT) | instid1(VALU_DEP_1)
	v_mad_co_u64_u32 v[4:5], null, s16, v6, 0
	v_mov_b32_e32 v1, v5
	s_delay_alu instid0(VALU_DEP_1) | instskip(SKIP_1) | instid1(VALU_DEP_2)
	v_mad_co_u64_u32 v[5:6], null, s17, v6, v[1:2]
	v_mul_lo_u32 v1, s18, v8
	v_lshlrev_b64_e32 v[4:5], 4, v[4:5]
	s_delay_alu instid0(VALU_DEP_2) | instskip(NEXT) | instid1(VALU_DEP_2)
	v_lshlrev_b64_e32 v[6:7], 4, v[1:2]
	v_add_co_u32 v1, vcc_lo, s24, v4
	s_wait_alu 0xfffd
	s_delay_alu instid0(VALU_DEP_3) | instskip(NEXT) | instid1(VALU_DEP_2)
	v_add_co_ci_u32_e32 v5, vcc_lo, s25, v5, vcc_lo
	v_add_co_u32 v4, vcc_lo, v1, v6
	s_wait_alu 0xfffd
	s_delay_alu instid0(VALU_DEP_2)
	v_add_co_ci_u32_e32 v5, vcc_lo, v5, v7, vcc_lo
	v_mad_u16 v1, v9, 12, v8
	v_cmp_lt_u32_e32 vcc_lo, 0x7eb, v3
	global_load_b128 v[4:7], v[4:5], off
	v_and_b32_e32 v1, 0xffff, v1
	s_wait_alu 0xfffe
	s_or_b32 s7, vcc_lo, s7
	s_delay_alu instid0(VALU_DEP_1)
	v_lshl_add_u32 v1, v1, 4, 0
	s_wait_loadcnt 0x0
	ds_store_b128 v1, v[4:7]
	s_wait_alu 0xfffe
	s_and_not1_b32 exec_lo, exec_lo, s7
	s_cbranch_execnz .LBB0_2
; %bb.3:
	s_or_b32 exec_lo, exec_lo, s7
	s_mov_b32 s7, 0
.LBB0_4:
	v_and_b32_e32 v1, 0xffff, v0
	s_wait_alu 0xfffe
	s_and_b32 vcc_lo, exec_lo, s7
	s_wait_alu 0xfffe
	s_cbranch_vccz .LBB0_6
; %bb.5:
	v_add_nc_u16 v2, v0, 0x9c
	v_mul_u32_u24_e32 v3, 0x184, v1
	v_add_nc_u16 v4, v0, 0x138
	v_add_nc_u16 v13, v0, 0x1d4
	;; [unrolled: 1-line block ×3, first 2 shown]
	v_and_b32_e32 v5, 0xffff, v2
	v_lshrrev_b32_e32 v54, 16, v3
	v_and_b32_e32 v3, 0xffff, v4
	s_lshl_b64 s[22:23], s[22:23], 4
	v_and_b32_e32 v7, 0xffff, v15
	v_mul_u32_u24_e32 v5, 0x184, v5
	v_mul_lo_u16 v6, 0xa9, v54
	v_mul_u32_u24_e32 v3, 0x184, v3
	v_mul_lo_u32 v34, s18, v54
	v_mul_u32_u24_e32 v14, 0x184, v7
	v_lshrrev_b32_e32 v55, 16, v5
	v_sub_nc_u16 v56, v0, v6
	v_lshrrev_b32_e32 v57, 16, v3
	v_mov_b32_e32 v35, 0
	v_and_b32_e32 v5, 0xffff, v13
	v_mul_lo_u16 v3, 0xa9, v55
	v_and_b32_e32 v10, 0xffff, v56
	v_mul_lo_u16 v6, 0xa9, v57
	s_add_nc_u64 s[20:21], s[20:21], s[22:23]
	v_mul_u32_u24_e32 v8, 0x184, v5
	v_sub_nc_u16 v58, v2, v3
	v_mad_co_u64_u32 v[2:3], null, s16, v10, 0
	v_sub_nc_u16 v59, v4, v6
	s_delay_alu instid0(VALU_DEP_4) | instskip(NEXT) | instid1(VALU_DEP_4)
	v_lshrrev_b32_e32 v60, 16, v8
	v_and_b32_e32 v12, 0xffff, v58
	v_lshlrev_b64_e32 v[8:9], 4, v[34:35]
	v_mul_lo_u32 v34, s18, v55
	v_and_b32_e32 v16, 0xffff, v59
	v_mul_lo_u16 v17, 0xa9, v60
	v_mad_co_u64_u32 v[4:5], null, s16, v12, 0
	v_lshrrev_b32_e32 v62, 16, v14
	s_delay_alu instid0(VALU_DEP_4) | instskip(NEXT) | instid1(VALU_DEP_4)
	v_mad_co_u64_u32 v[6:7], null, s16, v16, 0
	v_sub_nc_u16 v61, v13, v17
	v_add_nc_u16 v23, v0, 0x3a8
	v_add_nc_u16 v25, v0, 0x444
	v_mad_co_u64_u32 v[10:11], null, s17, v10, v[3:4]
	v_mov_b32_e32 v3, v5
	v_mov_b32_e32 v5, v7
	v_add_nc_u16 v31, v0, 0x4e0
	v_add_nc_u16 v41, v0, 0x618
	;; [unrolled: 1-line block ×3, first 2 shown]
	v_mad_co_u64_u32 v[11:12], null, s17, v12, v[3:4]
	v_mov_b32_e32 v3, v10
	v_mad_co_u64_u32 v[12:13], null, s17, v16, v[5:6]
	v_and_b32_e32 v16, 0xffff, v61
	v_lshlrev_b64_e32 v[13:14], 4, v[34:35]
	s_delay_alu instid0(VALU_DEP_4) | instskip(SKIP_4) | instid1(VALU_DEP_4)
	v_lshlrev_b64_e32 v[2:3], 4, v[2:3]
	v_mov_b32_e32 v5, v11
	v_mul_lo_u32 v34, s18, v57
	v_mad_co_u64_u32 v[10:11], null, s16, v16, 0
	v_mov_b32_e32 v7, v12
	v_lshlrev_b64_e32 v[4:5], 4, v[4:5]
	v_add_co_u32 v2, vcc_lo, s20, v2
	s_wait_alu 0xfffd
	v_add_co_ci_u32_e32 v3, vcc_lo, s21, v3, vcc_lo
	v_and_b32_e32 v32, 0xffff, v31
	s_delay_alu instid0(VALU_DEP_4)
	v_add_co_u32 v4, vcc_lo, s20, v4
	s_wait_alu 0xfffd
	v_add_co_ci_u32_e32 v5, vcc_lo, s21, v5, vcc_lo
	v_add_co_u32 v2, vcc_lo, v2, v8
	s_wait_alu 0xfffd
	v_add_co_ci_u32_e32 v3, vcc_lo, v3, v9, vcc_lo
	;; [unrolled: 3-line block ×3, first 2 shown]
	v_lshlrev_b64_e32 v[5:6], 4, v[6:7]
	v_mov_b32_e32 v4, v11
	v_mul_lo_u16 v7, 0xa9, v62
	v_add_nc_u16 v13, v0, 0x30c
	v_add_nc_u16 v44, v0, 0x750
	v_mul_lo_u16 v56, v56, 12
	v_mad_co_u64_u32 v[11:12], null, s17, v16, v[4:5]
	v_sub_nc_u16 v63, v15, v7
	v_and_b32_e32 v7, 0xffff, v13
	v_add_co_u32 v12, vcc_lo, s20, v5
	v_lshlrev_b64_e32 v[4:5], 4, v[34:35]
	v_mul_lo_u32 v34, s18, v60
	s_wait_alu 0xfffd
	v_add_co_ci_u32_e32 v14, vcc_lo, s21, v6, vcc_lo
	v_mul_u32_u24_e32 v15, 0xc1f, v7
	v_lshlrev_b64_e32 v[6:7], 4, v[10:11]
	v_add_co_u32 v10, vcc_lo, v12, v4
	s_wait_alu 0xfffd
	v_add_co_ci_u32_e32 v11, vcc_lo, v14, v5, vcc_lo
	v_lshlrev_b64_e32 v[4:5], 4, v[34:35]
	s_delay_alu instid0(VALU_DEP_4) | instskip(SKIP_3) | instid1(VALU_DEP_3)
	v_add_co_u32 v14, vcc_lo, s20, v6
	s_wait_alu 0xfffd
	v_add_co_ci_u32_e32 v7, vcc_lo, s21, v7, vcc_lo
	v_and_b32_e32 v16, 0xffff, v63
	v_add_co_u32 v14, vcc_lo, v14, v4
	v_and_b32_e32 v4, 0xffff, v23
	v_lshrrev_b32_e32 v64, 19, v15
	s_delay_alu instid0(VALU_DEP_4) | instskip(SKIP_1) | instid1(VALU_DEP_4)
	v_mad_co_u64_u32 v[18:19], null, s16, v16, 0
	v_mul_lo_u32 v34, s18, v62
	v_mul_u32_u24_e32 v24, 0xc1f, v4
	s_delay_alu instid0(VALU_DEP_4)
	v_mul_lo_u16 v12, 0xa9, v64
	s_wait_alu 0xfffd
	v_add_co_ci_u32_e32 v15, vcc_lo, v7, v5, vcc_lo
	v_and_b32_e32 v46, 0xffff, v44
	v_lshrrev_b32_e32 v66, 19, v24
	v_and_b32_e32 v24, 0xffff, v25
	v_sub_nc_u16 v65, v13, v12
	v_mov_b32_e32 v6, v19
	v_mul_lo_u16 v58, v58, 12
	v_mul_lo_u16 v26, 0xa9, v66
	v_mul_u32_u24_e32 v24, 0xc1f, v24
	v_and_b32_e32 v22, 0xffff, v65
	v_mad_co_u64_u32 v[19:20], null, s17, v16, v[6:7]
	s_delay_alu instid0(VALU_DEP_4) | instskip(NEXT) | instid1(VALU_DEP_4)
	v_sub_nc_u16 v67, v23, v26
	v_lshrrev_b32_e32 v68, 19, v24
	s_delay_alu instid0(VALU_DEP_4)
	v_mad_co_u64_u32 v[20:21], null, s16, v22, 0
	s_clause 0x3
	global_load_b128 v[2:5], v[2:3], off
	global_load_b128 v[6:9], v[8:9], off
	;; [unrolled: 1-line block ×4, first 2 shown]
	v_and_b32_e32 v24, 0xffff, v67
	v_mul_lo_u16 v28, 0xa9, v68
	v_lshlrev_b64_e32 v[18:19], 4, v[18:19]
	v_or_b32_e32 v54, v56, v54
	v_or_b32_e32 v55, v58, v55
	v_mad_co_u64_u32 v[21:22], null, s17, v22, v[21:22]
	v_sub_nc_u16 v69, v25, v28
	v_add_co_u32 v22, vcc_lo, s20, v18
	v_mad_co_u64_u32 v[26:27], null, s16, v24, 0
	s_wait_alu 0xfffd
	v_add_co_ci_u32_e32 v23, vcc_lo, s21, v19, vcc_lo
	v_lshlrev_b64_e32 v[18:19], 4, v[34:35]
	v_and_b32_e32 v30, 0xffff, v69
	v_mul_lo_u32 v34, s18, v64
	v_lshlrev_b64_e32 v[20:21], 4, v[20:21]
	v_mad_u16 v56, v59, 12, v57
	v_and_b32_e32 v54, 0xffff, v54
	v_mad_co_u64_u32 v[28:29], null, s16, v30, 0
	v_add_co_u32 v18, vcc_lo, v22, v18
	v_mov_b32_e32 v22, v27
	s_wait_alu 0xfffd
	v_add_co_ci_u32_e32 v19, vcc_lo, v23, v19, vcc_lo
	v_add_co_u32 v25, vcc_lo, s20, v20
	s_wait_alu 0xfffd
	v_add_co_ci_u32_e32 v27, vcc_lo, s21, v21, vcc_lo
	v_lshlrev_b64_e32 v[20:21], 4, v[34:35]
	v_mad_co_u64_u32 v[22:23], null, s17, v24, v[22:23]
	v_mov_b32_e32 v23, v29
	v_mul_u32_u24_e32 v29, 0xc1f, v32
	v_add_nc_u16 v32, v0, 0x57c
	v_add_co_u32 v24, vcc_lo, v25, v20
	s_wait_alu 0xfffd
	v_add_co_ci_u32_e32 v25, vcc_lo, v27, v21, vcc_lo
	v_lshrrev_b32_e32 v70, 19, v29
	s_delay_alu instid0(VALU_DEP_3) | instskip(SKIP_2) | instid1(VALU_DEP_4)
	v_mad_co_u64_u32 v[29:30], null, s17, v30, v[23:24]
	v_mov_b32_e32 v27, v22
	v_mul_lo_u32 v34, s18, v66
	v_mul_lo_u16 v30, 0xa9, v70
	s_clause 0x1
	global_load_b128 v[18:21], v[18:19], off
	global_load_b128 v[22:25], v[24:25], off
	v_and_b32_e32 v55, 0xffff, v55
	v_lshlrev_b64_e32 v[26:27], 4, v[26:27]
	v_lshlrev_b64_e32 v[28:29], 4, v[28:29]
	v_sub_nc_u16 v71, v31, v30
	v_and_b32_e32 v30, 0xffff, v32
	v_and_b32_e32 v56, 0xffff, v56
	v_lshl_add_u32 v54, v54, 4, 0
	v_add_co_u32 v31, vcc_lo, s20, v26
	s_delay_alu instid0(VALU_DEP_4)
	v_mul_u32_u24_e32 v30, 0xc1f, v30
	v_and_b32_e32 v38, 0xffff, v71
	s_wait_alu 0xfffd
	v_add_co_ci_u32_e32 v33, vcc_lo, s21, v27, vcc_lo
	v_lshlrev_b64_e32 v[26:27], 4, v[34:35]
	v_lshrrev_b32_e32 v72, 19, v30
	v_mul_lo_u32 v34, s18, v68
	v_mad_co_u64_u32 v[36:37], null, s16, v38, 0
	v_lshl_add_u32 v55, v55, 4, 0
	v_add_co_u32 v26, vcc_lo, v31, v26
	v_mul_lo_u16 v30, 0xa9, v72
	s_wait_alu 0xfffd
	v_add_co_ci_u32_e32 v27, vcc_lo, v33, v27, vcc_lo
	v_add_co_u32 v31, vcc_lo, s20, v28
	s_wait_alu 0xfffd
	v_add_co_ci_u32_e32 v33, vcc_lo, s21, v29, vcc_lo
	v_sub_nc_u16 v73, v32, v30
	v_lshlrev_b64_e32 v[29:30], 4, v[34:35]
	v_mov_b32_e32 v28, v37
	v_mul_lo_u32 v34, s18, v70
	v_lshl_add_u32 v56, v56, 4, 0
	v_and_b32_e32 v40, 0xffff, v73
	s_delay_alu instid0(VALU_DEP_4) | instskip(SKIP_2) | instid1(VALU_DEP_4)
	v_mad_co_u64_u32 v[37:38], null, s17, v38, v[28:29]
	v_and_b32_e32 v28, 0xffff, v41
	v_add_co_u32 v31, vcc_lo, v31, v29
	v_mad_co_u64_u32 v[38:39], null, s16, v40, 0
	s_delay_alu instid0(VALU_DEP_3)
	v_mul_u32_u24_e32 v42, 0xc1f, v28
	v_lshlrev_b64_e32 v[36:37], 4, v[36:37]
	s_wait_alu 0xfffd
	v_add_co_ci_u32_e32 v32, vcc_lo, v33, v30, vcc_lo
	s_clause 0x1
	global_load_b128 v[26:29], v[26:27], off
	global_load_b128 v[30:33], v[31:32], off
	v_lshrrev_b32_e32 v74, 19, v42
	v_and_b32_e32 v42, 0xffff, v43
	v_mad_co_u64_u32 v[39:40], null, s17, v40, v[39:40]
	v_mul_u32_u24_e32 v40, 0xc1f, v46
	s_delay_alu instid0(VALU_DEP_4) | instskip(NEXT) | instid1(VALU_DEP_4)
	v_mul_lo_u16 v45, 0xa9, v74
	v_mul_u32_u24_e32 v42, 0xc1f, v42
	s_delay_alu instid0(VALU_DEP_3) | instskip(NEXT) | instid1(VALU_DEP_3)
	v_lshrrev_b32_e32 v77, 19, v40
	v_sub_nc_u16 v75, v41, v45
	s_delay_alu instid0(VALU_DEP_3)
	v_lshrrev_b32_e32 v76, 19, v42
	v_add_co_u32 v42, vcc_lo, s20, v36
	s_wait_alu 0xfffd
	v_add_co_ci_u32_e32 v45, vcc_lo, s21, v37, vcc_lo
	v_lshlrev_b64_e32 v[36:37], 4, v[34:35]
	v_mul_lo_u16 v34, 0xa9, v76
	v_and_b32_e32 v46, 0xffff, v75
	v_lshlrev_b64_e32 v[38:39], 4, v[38:39]
	s_delay_alu instid0(VALU_DEP_3) | instskip(SKIP_1) | instid1(VALU_DEP_4)
	v_sub_nc_u16 v78, v43, v34
	v_mul_lo_u16 v34, 0xa9, v77
	v_mad_co_u64_u32 v[40:41], null, s16, v46, 0
	v_add_co_u32 v36, vcc_lo, v42, v36
	s_delay_alu instid0(VALU_DEP_4) | instskip(NEXT) | instid1(VALU_DEP_4)
	v_and_b32_e32 v49, 0xffff, v78
	v_sub_nc_u16 v79, v44, v34
	s_wait_alu 0xfffd
	v_add_co_ci_u32_e32 v37, vcc_lo, v45, v37, vcc_lo
	v_mul_lo_u32 v34, s18, v72
	v_mad_co_u64_u32 v[42:43], null, s16, v49, 0
	v_and_b32_e32 v51, 0xffff, v79
	v_add_co_u32 v50, vcc_lo, s20, v38
	s_wait_alu 0xfffd
	v_add_co_ci_u32_e32 v52, vcc_lo, s21, v39, vcc_lo
	v_lshlrev_b64_e32 v[47:48], 4, v[34:35]
	v_mad_co_u64_u32 v[44:45], null, s17, v46, v[41:42]
	v_mad_co_u64_u32 v[45:46], null, s16, v51, 0
	v_mov_b32_e32 v38, v43
	v_mul_lo_u32 v34, s18, v74
	v_add_co_u32 v47, vcc_lo, v50, v47
	v_mov_b32_e32 v41, v44
	s_delay_alu instid0(VALU_DEP_4)
	v_mad_co_u64_u32 v[38:39], null, s17, v49, v[38:39]
	v_mov_b32_e32 v39, v46
	s_wait_alu 0xfffd
	v_add_co_ci_u32_e32 v48, vcc_lo, v52, v48, vcc_lo
	v_lshlrev_b64_e32 v[40:41], 4, v[40:41]
	v_lshlrev_b64_e32 v[49:50], 4, v[34:35]
	v_mul_lo_u32 v34, s18, v76
	v_mov_b32_e32 v43, v38
	s_delay_alu instid0(VALU_DEP_4) | instskip(SKIP_4) | instid1(VALU_DEP_3)
	v_mad_co_u64_u32 v[51:52], null, s17, v51, v[39:40]
	v_add_co_u32 v40, vcc_lo, s20, v40
	s_wait_alu 0xfffd
	v_add_co_ci_u32_e32 v41, vcc_lo, s21, v41, vcc_lo
	v_lshlrev_b64_e32 v[38:39], 4, v[42:43]
	v_add_co_u32 v42, vcc_lo, v40, v49
	v_mov_b32_e32 v46, v51
	s_wait_alu 0xfffd
	v_add_co_ci_u32_e32 v43, vcc_lo, v41, v50, vcc_lo
	v_lshlrev_b64_e32 v[40:41], 4, v[34:35]
	v_mul_lo_u32 v34, s18, v77
	v_lshlrev_b64_e32 v[44:45], 4, v[45:46]
	v_add_co_u32 v38, vcc_lo, s20, v38
	s_wait_alu 0xfffd
	v_add_co_ci_u32_e32 v39, vcc_lo, s21, v39, vcc_lo
	s_delay_alu instid0(VALU_DEP_3)
	v_add_co_u32 v44, vcc_lo, s20, v44
	v_lshlrev_b64_e32 v[34:35], 4, v[34:35]
	s_wait_alu 0xfffd
	v_add_co_ci_u32_e32 v45, vcc_lo, s21, v45, vcc_lo
	v_add_co_u32 v49, vcc_lo, v38, v40
	s_wait_alu 0xfffd
	v_add_co_ci_u32_e32 v50, vcc_lo, v39, v41, vcc_lo
	v_add_co_u32 v51, vcc_lo, v44, v34
	s_wait_alu 0xfffd
	v_add_co_ci_u32_e32 v52, vcc_lo, v45, v35, vcc_lo
	s_clause 0x4
	global_load_b128 v[34:37], v[36:37], off
	global_load_b128 v[38:41], v[47:48], off
	global_load_b128 v[42:45], v[42:43], off
	global_load_b128 v[46:49], v[49:50], off
	global_load_b128 v[50:53], v[51:52], off
	s_wait_loadcnt 0xc
	ds_store_b128 v54, v[2:5]
	s_wait_loadcnt 0xb
	ds_store_b128 v55, v[6:9]
	;; [unrolled: 2-line block ×3, first 2 shown]
	v_mad_u16 v2, v61, 12, v60
	v_mad_u16 v3, v63, 12, v62
	;; [unrolled: 1-line block ×5, first 2 shown]
	v_and_b32_e32 v2, 0xffff, v2
	v_and_b32_e32 v3, 0xffff, v3
	;; [unrolled: 1-line block ×5, first 2 shown]
	v_lshl_add_u32 v2, v2, 4, 0
	v_lshl_add_u32 v3, v3, 4, 0
	;; [unrolled: 1-line block ×5, first 2 shown]
	s_wait_loadcnt 0x9
	ds_store_b128 v2, v[14:17]
	s_wait_loadcnt 0x8
	ds_store_b128 v3, v[18:21]
	;; [unrolled: 2-line block ×5, first 2 shown]
	v_mad_u16 v2, v71, 12, v70
	v_mad_u16 v3, v73, 12, v72
	;; [unrolled: 1-line block ×5, first 2 shown]
	v_and_b32_e32 v2, 0xffff, v2
	v_and_b32_e32 v3, 0xffff, v3
	;; [unrolled: 1-line block ×5, first 2 shown]
	v_lshl_add_u32 v2, v2, 4, 0
	v_lshl_add_u32 v3, v3, 4, 0
	;; [unrolled: 1-line block ×5, first 2 shown]
	s_wait_loadcnt 0x4
	ds_store_b128 v2, v[34:37]
	s_wait_loadcnt 0x3
	ds_store_b128 v3, v[38:41]
	;; [unrolled: 2-line block ×5, first 2 shown]
.LBB0_6:
	v_mul_u32_u24_e32 v1, 0x1556, v1
	v_mul_hi_u32 v35, 0x15555556, v0
	global_wb scope:SCOPE_SE
	s_wait_dscnt 0x0
	s_barrier_signal -1
	s_barrier_wait -1
	v_lshrrev_b32_e32 v1, 16, v1
	global_inv scope:SCOPE_SE
	s_mov_b32 s44, 0x4267c47c
	s_mov_b32 s16, 0xe00740e9
	;; [unrolled: 1-line block ×3, first 2 shown]
	v_mul_lo_u16 v1, v1, 12
	s_mov_b32 s18, 0x1ea71119
	s_mov_b32 s45, 0xbfddbe06
	;; [unrolled: 1-line block ×4, first 2 shown]
	v_sub_nc_u16 v1, v0, v1
	s_mov_b32 s19, 0x3fe22d96
	s_mov_b32 s38, 0x66966769
	;; [unrolled: 1-line block ×4, first 2 shown]
	v_and_b32_e32 v33, 0xffff, v1
	v_mul_u32_u24_e32 v1, 0xc0, v35
	s_mov_b32 s36, 0x24c2f84
	s_mov_b32 s40, 0x4bc48dbf
	s_mov_b32 s39, 0xbfefc445
	v_lshlrev_b32_e32 v2, 4, v33
	s_mov_b32 s21, 0x3fbedb7d
	s_mov_b32 s31, 0xbfedeba7
	;; [unrolled: 1-line block ×4, first 2 shown]
	v_add3_u32 v34, 0, v1, v2
	s_mov_b32 s41, 0xbfcea1e5
	s_mov_b32 s23, 0xbfd6b1d8
	;; [unrolled: 1-line block ×4, first 2 shown]
	ds_load_b128 v[5:8], v34
	ds_load_b128 v[13:16], v34 offset:2496
	ds_load_b128 v[25:28], v34 offset:4992
	;; [unrolled: 1-line block ×3, first 2 shown]
	s_mov_b32 s48, 0x93053d00
	s_mov_b32 s49, 0xbfef11f4
	;; [unrolled: 1-line block ×15, first 2 shown]
	s_wait_dscnt 0x2
	v_add_f64_e32 v[1:2], v[5:6], v[13:14]
	v_add_f64_e32 v[3:4], v[7:8], v[15:16]
	s_wait_dscnt 0x1
	s_delay_alu instid0(VALU_DEP_2) | instskip(NEXT) | instid1(VALU_DEP_2)
	v_add_f64_e32 v[29:30], v[1:2], v[25:26]
	v_add_f64_e32 v[31:32], v[3:4], v[27:28]
	ds_load_b128 v[1:4], v34 offset:29952
	ds_load_b128 v[9:12], v34 offset:27456
	ds_load_b128 v[17:20], v34 offset:24960
	ds_load_b128 v[40:43], v34 offset:19968
	ds_load_b128 v[21:24], v34 offset:22464
	ds_load_b128 v[44:47], v34 offset:9984
	ds_load_b128 v[48:51], v34 offset:12480
	ds_load_b128 v[52:55], v34 offset:14976
	ds_load_b128 v[56:59], v34 offset:17472
	global_wb scope:SCOPE_SE
	s_wait_dscnt 0x0
	s_barrier_signal -1
	s_barrier_wait -1
	global_inv scope:SCOPE_SE
	v_add_f64_e64 v[64:65], v[27:28], -v[11:12]
	v_add_f64_e64 v[60:61], v[15:16], -v[3:4]
	v_add_f64_e32 v[62:63], v[15:16], v[3:4]
	v_add_f64_e64 v[74:75], v[46:47], -v[23:24]
	v_add_f64_e32 v[76:77], v[46:47], v[23:24]
	v_add_f64_e32 v[88:89], v[44:45], v[21:22]
	v_add_f64_e64 v[90:91], v[44:45], -v[21:22]
	v_add_f64_e32 v[66:67], v[27:28], v[11:12]
	v_add_f64_e32 v[80:81], v[13:14], v[1:2]
	v_add_f64_e64 v[82:83], v[13:14], -v[1:2]
	v_add_f64_e64 v[68:69], v[38:39], -v[19:20]
	v_add_f64_e64 v[78:79], v[50:51], -v[42:43]
	v_add_f64_e32 v[84:85], v[50:51], v[42:43]
	v_add_f64_e64 v[27:28], v[48:49], -v[40:41]
	v_add_f64_e32 v[92:93], v[25:26], v[9:10]
	v_add_f64_e64 v[94:95], v[25:26], -v[9:10]
	v_add_f64_e32 v[70:71], v[29:30], v[36:37]
	v_add_f64_e32 v[72:73], v[31:32], v[38:39]
	;; [unrolled: 1-line block ×5, first 2 shown]
	v_add_f64_e64 v[36:37], v[36:37], -v[17:18]
	v_add_f64_e32 v[15:16], v[52:53], v[56:57]
	v_add_f64_e32 v[31:32], v[54:55], v[58:59]
	v_add_f64_e64 v[13:14], v[52:53], -v[56:57]
	v_add_f64_e64 v[86:87], v[54:55], -v[58:59]
	v_mul_f64_e32 v[118:119], s[34:35], v[64:65]
	v_mul_f64_e32 v[98:99], s[44:45], v[60:61]
	s_wait_alu 0xfffe
	v_mul_f64_e32 v[100:101], s[16:17], v[62:63]
	v_mul_f64_e32 v[102:103], s[34:35], v[60:61]
	;; [unrolled: 1-line block ×14, first 2 shown]
	v_add_f64_e32 v[44:45], v[70:71], v[44:45]
	v_add_f64_e32 v[46:47], v[72:73], v[46:47]
	v_mul_f64_e32 v[138:139], s[40:41], v[64:65]
	v_mul_f64_e32 v[140:141], s[48:49], v[66:67]
	;; [unrolled: 1-line block ×21, first 2 shown]
	v_fma_f64 v[174:175], v[80:81], s[16:17], v[98:99]
	v_fma_f64 v[176:177], v[82:83], s[24:25], v[100:101]
	v_mul_f64_e32 v[124:125], s[22:23], v[76:77]
	v_mul_f64_e32 v[134:135], s[52:53], v[74:75]
	v_fma_f64 v[178:179], v[80:81], s[20:21], v[106:107]
	v_fma_f64 v[106:107], v[80:81], s[20:21], -v[106:107]
	v_fma_f64 v[180:181], v[80:81], s[22:23], v[108:109]
	v_fma_f64 v[108:109], v[80:81], s[22:23], -v[108:109]
	;; [unrolled: 2-line block ×4, first 2 shown]
	v_fma_f64 v[186:187], v[82:83], s[42:43], v[114:115]
	v_fma_f64 v[188:189], v[82:83], s[52:53], v[116:117]
	;; [unrolled: 1-line block ×3, first 2 shown]
	v_add_f64_e32 v[44:45], v[44:45], v[48:49]
	v_add_f64_e32 v[46:47], v[46:47], v[50:51]
	v_fma_f64 v[48:49], v[80:81], s[16:17], -v[98:99]
	v_fma_f64 v[50:51], v[82:83], s[44:45], v[100:101]
	v_fma_f64 v[98:99], v[80:81], s[18:19], v[102:103]
	;; [unrolled: 1-line block ×3, first 2 shown]
	v_fma_f64 v[102:103], v[80:81], s[18:19], -v[102:103]
	v_fma_f64 v[80:81], v[82:83], s[28:29], v[112:113]
	v_fma_f64 v[104:105], v[82:83], s[34:35], v[104:105]
	;; [unrolled: 1-line block ×6, first 2 shown]
	v_fma_f64 v[82:83], v[92:93], s[18:19], -v[118:119]
	v_fma_f64 v[192:193], v[94:95], s[34:35], v[120:121]
	v_fma_f64 v[202:203], v[92:93], s[22:23], v[126:127]
	;; [unrolled: 1-line block ×8, first 2 shown]
	v_fma_f64 v[126:127], v[92:93], s[22:23], -v[126:127]
	v_fma_f64 v[138:139], v[92:93], s[48:49], -v[138:139]
	;; [unrolled: 1-line block ×3, first 2 shown]
	v_fma_f64 v[228:229], v[92:93], s[20:21], v[162:163]
	v_fma_f64 v[162:163], v[92:93], s[20:21], -v[162:163]
	v_add_f64_e32 v[178:179], v[5:6], v[178:179]
	v_fma_f64 v[230:231], v[92:93], s[16:17], v[64:65]
	v_add_f64_e32 v[180:181], v[5:6], v[180:181]
	v_fma_f64 v[64:65], v[92:93], s[16:17], -v[64:65]
	v_fma_f64 v[92:93], v[94:95], s[26:27], v[120:121]
	v_fma_f64 v[120:121], v[94:95], s[30:31], v[128:129]
	;; [unrolled: 1-line block ×4, first 2 shown]
	v_add_f64_e32 v[186:187], v[7:8], v[186:187]
	v_fma_f64 v[152:153], v[94:95], s[38:39], v[164:165]
	v_add_f64_e32 v[174:175], v[5:6], v[174:175]
	v_add_f64_e32 v[44:45], v[44:45], v[52:53]
	;; [unrolled: 1-line block ×13, first 2 shown]
	v_fma_f64 v[164:165], v[94:95], s[28:29], v[164:165]
	v_fma_f64 v[232:233], v[94:95], s[44:45], v[66:67]
	v_add_f64_e32 v[110:111], v[5:6], v[110:111]
	v_add_f64_e32 v[116:117], v[7:8], v[116:117]
	;; [unrolled: 1-line block ×4, first 2 shown]
	v_fma_f64 v[66:67], v[94:95], s[24:25], v[66:67]
	v_add_f64_e32 v[176:177], v[7:8], v[176:177]
	v_add_f64_e32 v[112:113], v[7:8], v[112:113]
	;; [unrolled: 1-line block ×6, first 2 shown]
	v_mul_f64_e32 v[136:137], s[46:47], v[76:77]
	v_mul_f64_e32 v[146:147], s[24:25], v[74:75]
	;; [unrolled: 1-line block ×9, first 2 shown]
	v_fma_f64 v[194:195], v[96:97], s[20:21], -v[122:123]
	v_fma_f64 v[196:197], v[36:37], s[38:39], v[70:71]
	v_fma_f64 v[206:207], v[96:97], s[48:49], v[130:131]
	;; [unrolled: 1-line block ×3, first 2 shown]
	v_add_f64_e32 v[44:45], v[44:45], v[56:57]
	v_add_f64_e32 v[46:47], v[46:47], v[58:59]
	;; [unrolled: 1-line block ×6, first 2 shown]
	v_fma_f64 v[52:53], v[96:97], s[22:23], v[142:143]
	v_fma_f64 v[54:55], v[36:37], s[30:31], v[144:145]
	v_add_f64_e32 v[178:179], v[214:215], v[178:179]
	v_add_f64_e32 v[80:81], v[216:217], v[80:81]
	v_fma_f64 v[226:227], v[96:97], s[16:17], v[154:155]
	v_fma_f64 v[94:95], v[96:97], s[20:21], v[122:123]
	v_fma_f64 v[122:123], v[96:97], s[48:49], -v[130:131]
	v_fma_f64 v[130:131], v[96:97], s[22:23], -v[142:143]
	;; [unrolled: 1-line block ×3, first 2 shown]
	v_fma_f64 v[154:155], v[96:97], s[18:19], v[166:167]
	v_fma_f64 v[166:167], v[96:97], s[18:19], -v[166:167]
	v_fma_f64 v[234:235], v[96:97], s[46:47], v[68:69]
	v_fma_f64 v[68:69], v[96:97], s[46:47], -v[68:69]
	v_fma_f64 v[96:97], v[36:37], s[44:45], v[156:157]
	v_add_f64_e32 v[180:181], v[222:223], v[180:181]
	v_add_f64_e32 v[186:187], v[224:225], v[186:187]
	v_fma_f64 v[132:133], v[36:37], s[40:41], v[132:133]
	v_fma_f64 v[56:57], v[36:37], s[26:27], v[168:169]
	v_add_f64_e32 v[118:119], v[118:119], v[174:175]
	v_add_f64_e32 v[102:103], v[126:127], v[102:103]
	;; [unrolled: 1-line block ×6, first 2 shown]
	v_fma_f64 v[58:59], v[36:37], s[34:35], v[168:169]
	v_fma_f64 v[168:169], v[36:37], s[52:53], v[38:39]
	v_add_f64_e32 v[110:111], v[162:163], v[110:111]
	v_add_f64_e32 v[116:117], v[164:165], v[116:117]
	;; [unrolled: 1-line block ×4, first 2 shown]
	v_fma_f64 v[70:71], v[36:37], s[28:29], v[70:71]
	v_fma_f64 v[144:145], v[36:37], s[42:43], v[144:145]
	;; [unrolled: 1-line block ×4, first 2 shown]
	v_add_f64_e32 v[5:6], v[64:65], v[5:6]
	v_add_f64_e32 v[7:8], v[66:67], v[7:8]
	;; [unrolled: 1-line block ×8, first 2 shown]
	v_mul_f64_e32 v[25:26], s[36:37], v[78:79]
	v_fma_f64 v[198:199], v[88:89], s[22:23], -v[72:73]
	v_fma_f64 v[200:201], v[90:91], s[30:31], v[124:125]
	v_fma_f64 v[210:211], v[88:89], s[46:47], v[134:135]
	;; [unrolled: 1-line block ×7, first 2 shown]
	v_fma_f64 v[134:135], v[88:89], s[46:47], -v[134:135]
	v_fma_f64 v[146:147], v[88:89], s[16:17], -v[146:147]
	;; [unrolled: 1-line block ×3, first 2 shown]
	v_fma_f64 v[60:61], v[88:89], s[48:49], v[170:171]
	v_fma_f64 v[62:63], v[88:89], s[48:49], -v[170:171]
	v_fma_f64 v[170:171], v[88:89], s[18:19], v[74:75]
	v_fma_f64 v[74:75], v[88:89], s[18:19], -v[74:75]
	v_fma_f64 v[88:89], v[90:91], s[28:29], v[160:161]
	v_fma_f64 v[124:125], v[90:91], s[42:43], v[124:125]
	;; [unrolled: 1-line block ×9, first 2 shown]
	v_mul_f64_e32 v[90:91], s[46:47], v[84:85]
	v_mul_f64_e32 v[202:203], s[28:29], v[78:79]
	;; [unrolled: 1-line block ×3, first 2 shown]
	v_add_f64_e32 v[48:49], v[194:195], v[48:49]
	v_add_f64_e32 v[50:51], v[196:197], v[50:51]
	v_add_f64_e32 v[98:99], v[206:207], v[98:99]
	v_add_f64_e32 v[100:101], v[208:209], v[100:101]
	v_mul_f64_e32 v[222:223], s[34:35], v[78:79]
	v_mul_f64_e32 v[224:225], s[18:19], v[84:85]
	v_add_f64_e32 v[52:53], v[52:53], v[178:179]
	v_add_f64_e32 v[54:55], v[54:55], v[80:81]
	v_mul_f64_e32 v[120:121], s[50:51], v[78:79]
	v_mul_f64_e32 v[138:139], s[48:49], v[84:85]
	v_add_f64_e32 v[180:181], v[226:227], v[180:181]
	v_add_f64_e32 v[96:97], v[96:97], v[186:187]
	v_mul_f64_e32 v[140:141], s[24:25], v[78:79]
	v_mul_f64_e32 v[228:229], s[16:17], v[84:85]
	v_add_f64_e32 v[94:95], v[94:95], v[118:119]
	v_add_f64_e32 v[102:103], v[122:123], v[102:103]
	v_add_f64_e32 v[104:105], v[132:133], v[104:105]
	v_add_f64_e32 v[106:107], v[130:131], v[106:107]
	;; [unrolled: 1-line block ×4, first 2 shown]
	v_mul_f64_e32 v[78:79], s[30:31], v[78:79]
	v_mul_f64_e32 v[84:85], s[22:23], v[84:85]
	v_add_f64_e32 v[110:111], v[166:167], v[110:111]
	v_add_f64_e32 v[58:59], v[58:59], v[116:117]
	;; [unrolled: 1-line block ×12, first 2 shown]
	v_mul_f64_e32 v[82:83], s[40:41], v[86:87]
	v_mul_f64_e32 v[214:215], s[24:25], v[86:87]
	;; [unrolled: 1-line block ×7, first 2 shown]
	v_fma_f64 v[164:165], v[29:30], s[46:47], -v[25:26]
	v_fma_f64 v[230:231], v[27:28], s[36:37], v[90:91]
	v_fma_f64 v[66:67], v[29:30], s[20:21], v[202:203]
	;; [unrolled: 1-line block ×3, first 2 shown]
	v_add_f64_e32 v[48:49], v[198:199], v[48:49]
	v_add_f64_e32 v[50:51], v[200:201], v[50:51]
	;; [unrolled: 1-line block ×4, first 2 shown]
	v_mul_f64_e32 v[126:127], s[46:47], v[31:32]
	v_fma_f64 v[206:207], v[29:30], s[18:19], v[222:223]
	v_fma_f64 v[208:209], v[27:28], s[26:27], v[224:225]
	v_add_f64_e32 v[52:53], v[218:219], v[52:53]
	v_add_f64_e32 v[54:55], v[220:221], v[54:55]
	v_mul_f64_e32 v[150:151], s[18:19], v[31:32]
	v_fma_f64 v[226:227], v[29:30], s[48:49], v[120:121]
	v_fma_f64 v[186:187], v[27:28], s[40:41], v[138:139]
	v_add_f64_e32 v[38:39], v[38:39], v[180:181]
	v_add_f64_e32 v[88:89], v[88:89], v[96:97]
	v_mul_f64_e32 v[192:193], s[48:49], v[31:32]
	v_mul_f64_e32 v[162:163], s[20:21], v[31:32]
	;; [unrolled: 1-line block ×3, first 2 shown]
	v_fma_f64 v[25:26], v[29:30], s[46:47], v[25:26]
	v_fma_f64 v[202:203], v[29:30], s[20:21], -v[202:203]
	v_fma_f64 v[222:223], v[29:30], s[18:19], -v[222:223]
	v_fma_f64 v[40:41], v[29:30], s[16:17], v[140:141]
	v_fma_f64 v[42:43], v[27:28], s[28:29], v[204:205]
	;; [unrolled: 1-line block ×3, first 2 shown]
	v_add_f64_e32 v[72:73], v[72:73], v[94:95]
	v_add_f64_e32 v[94:95], v[134:135], v[102:103]
	;; [unrolled: 1-line block ×6, first 2 shown]
	v_fma_f64 v[36:37], v[29:30], s[48:49], -v[120:121]
	v_fma_f64 v[68:69], v[29:30], s[16:17], -v[140:141]
	v_fma_f64 v[120:121], v[29:30], s[22:23], v[78:79]
	v_fma_f64 v[140:141], v[27:28], s[42:43], v[84:85]
	v_add_f64_e32 v[56:57], v[62:63], v[110:111]
	v_add_f64_e32 v[46:47], v[46:47], v[58:59]
	;; [unrolled: 1-line block ×4, first 2 shown]
	v_fma_f64 v[29:30], v[29:30], s[22:23], -v[78:79]
	v_fma_f64 v[84:85], v[27:28], s[30:31], v[84:85]
	v_add_f64_e32 v[5:6], v[74:75], v[5:6]
	v_add_f64_e32 v[7:8], v[76:77], v[7:8]
	v_fma_f64 v[92:93], v[27:28], s[50:51], v[138:139]
	v_fma_f64 v[138:139], v[27:28], s[24:25], v[228:229]
	v_add_f64_e32 v[106:107], v[158:159], v[108:109]
	v_add_f64_e32 v[108:109], v[160:161], v[114:115]
	v_fma_f64 v[78:79], v[27:28], s[34:35], v[224:225]
	v_add_f64_e32 v[104:105], v[148:149], v[112:113]
	v_add_f64_e32 v[17:18], v[21:22], v[17:18]
	;; [unrolled: 1-line block ×3, first 2 shown]
	v_fma_f64 v[27:28], v[27:28], s[52:53], v[90:91]
	v_add_f64_e32 v[70:71], v[124:125], v[70:71]
	v_fma_f64 v[232:233], v[15:16], s[48:49], -v[82:83]
	v_fma_f64 v[194:195], v[15:16], s[16:17], v[214:215]
	v_fma_f64 v[196:197], v[13:14], s[44:45], v[216:217]
	;; [unrolled: 1-line block ×5, first 2 shown]
	v_fma_f64 v[76:77], v[15:16], s[16:17], -v[214:215]
	v_fma_f64 v[82:83], v[15:16], s[46:47], -v[174:175]
	;; [unrolled: 1-line block ×3, first 2 shown]
	v_fma_f64 v[90:91], v[15:16], s[22:23], v[188:189]
	v_fma_f64 v[110:111], v[15:16], s[22:23], -v[188:189]
	v_fma_f64 v[112:113], v[15:16], s[20:21], v[86:87]
	v_fma_f64 v[86:87], v[15:16], s[20:21], -v[86:87]
	v_add_f64_e32 v[15:16], v[164:165], v[48:49]
	v_add_f64_e32 v[48:49], v[230:231], v[50:51]
	;; [unrolled: 1-line block ×4, first 2 shown]
	v_fma_f64 v[80:81], v[13:14], s[52:53], v[126:127]
	v_add_f64_e32 v[52:53], v[206:207], v[52:53]
	v_add_f64_e32 v[54:55], v[208:209], v[54:55]
	v_fma_f64 v[21:22], v[13:14], s[34:35], v[150:151]
	v_add_f64_e32 v[38:39], v[226:227], v[38:39]
	v_add_f64_e32 v[88:89], v[186:187], v[88:89]
	;; [unrolled: 3-line block ×3, first 2 shown]
	v_add_f64_e32 v[94:95], v[42:43], v[96:97]
	v_add_f64_e32 v[42:43], v[222:223], v[102:103]
	;; [unrolled: 1-line block ×4, first 2 shown]
	v_fma_f64 v[64:65], v[13:14], s[40:41], v[192:193]
	v_fma_f64 v[114:115], v[13:14], s[38:39], v[162:163]
	v_add_f64_e32 v[58:59], v[120:121], v[58:59]
	v_add_f64_e32 v[60:61], v[140:141], v[62:63]
	;; [unrolled: 1-line block ×5, first 2 shown]
	v_fma_f64 v[96:97], v[13:14], s[28:29], v[162:163]
	v_add_f64_e32 v[46:47], v[138:139], v[46:47]
	v_fma_f64 v[31:32], v[13:14], s[30:31], v[31:32]
	v_add_f64_e32 v[36:37], v[36:37], v[106:107]
	v_add_f64_e32 v[92:93], v[92:93], v[108:109]
	v_fma_f64 v[98:99], v[13:14], s[26:27], v[150:151]
	v_add_f64_e32 v[78:79], v[78:79], v[104:105]
	v_fma_f64 v[100:101], v[13:14], s[36:37], v[126:127]
	v_fma_f64 v[102:103], v[13:14], s[24:25], v[216:217]
	v_add_f64_e32 v[84:85], v[17:18], v[9:10]
	v_add_f64_e32 v[104:105], v[19:20], v[11:12]
	v_fma_f64 v[106:107], v[13:14], s[50:51], v[192:193]
	v_add_f64_e32 v[70:71], v[27:28], v[70:71]
	v_add_f64_e32 v[5:6], v[232:233], v[15:16]
	;; [unrolled: 1-line block ×18, first 2 shown]
	v_add_nc_u32_e32 v56, s10, v33
	v_add_f64_e32 v[54:55], v[96:97], v[68:69]
	v_add_f64_e32 v[46:47], v[31:32], v[46:47]
	;; [unrolled: 1-line block ×3, first 2 shown]
	s_delay_alu instid0(VALU_DEP_4)
	v_cmp_gt_u32_e32 vcc_lo, s12, v56
	v_add_f64_e32 v[38:39], v[98:99], v[92:93]
	v_mad_u32_u24 v56, 0x900, v35, v34
	v_add_f64_e32 v[31:32], v[100:101], v[78:79]
	v_add_f64_e32 v[27:28], v[102:103], v[94:95]
	;; [unrolled: 1-line block ×4, first 2 shown]
	s_or_b32 s3, s3, vcc_lo
	v_add_f64_e32 v[23:24], v[106:107], v[70:71]
	ds_store_b128 v56, v[9:12] offset:384
	ds_store_b128 v56, v[13:16] offset:576
	;; [unrolled: 1-line block ×11, first 2 shown]
	ds_store_b128 v56, v[1:4]
	ds_store_b128 v56, v[21:24] offset:192
	global_wb scope:SCOPE_SE
	s_wait_dscnt 0x0
	s_barrier_signal -1
	s_barrier_wait -1
	global_inv scope:SCOPE_SE
	s_and_saveexec_b32 s11, s3
	s_cbranch_execz .LBB0_8
; %bb.7:
	v_mul_hi_u32 v1, 0x13b13b14, v35
	s_clause 0x1
	s_load_b64 s[12:13], s[0:1], 0x0
	s_load_b64 s[0:1], s[0:1], 0x60
	v_mul_hi_u32 v0, 0x1a41a42, v0
	s_mov_b32 s11, s7
	s_mul_i32 s6, s33, s6
	s_mul_u64 s[8:9], s[8:9], s[14:15]
	s_wait_alu 0xfffe
	s_lshl_b64 s[6:7], s[6:7], 4
	v_mul_u32_u24_e32 v1, 13, v1
	s_delay_alu instid0(VALU_DEP_1) | instskip(NEXT) | instid1(VALU_DEP_1)
	v_sub_nc_u32_e32 v5, v35, v1
	v_mul_u32_u24_e32 v1, 12, v5
	s_delay_alu instid0(VALU_DEP_1)
	v_lshlrev_b32_e32 v6, 4, v1
	s_wait_kmcnt 0x0
	global_load_b128 v[7:10], v6, s[12:13]
	ds_load_b128 v[11:14], v34 offset:2496
	ds_load_b128 v[1:4], v34
	global_load_b128 v[15:18], v6, s[12:13] offset:16
	s_wait_loadcnt_dscnt 0x101
	v_mul_f64_e32 v[19:20], v[13:14], v[9:10]
	v_mul_f64_e32 v[9:10], v[11:12], v[9:10]
	s_delay_alu instid0(VALU_DEP_2) | instskip(NEXT) | instid1(VALU_DEP_2)
	v_fma_f64 v[31:32], v[11:12], v[7:8], v[19:20]
	v_fma_f64 v[43:44], v[13:14], v[7:8], -v[9:10]
	s_clause 0x1
	global_load_b128 v[7:10], v6, s[12:13] offset:176
	global_load_b128 v[19:22], v6, s[12:13] offset:160
	ds_load_b128 v[11:14], v34 offset:29952
	s_wait_loadcnt_dscnt 0x100
	v_mul_f64_e32 v[23:24], v[13:14], v[9:10]
	v_mul_f64_e32 v[9:10], v[11:12], v[9:10]
	s_delay_alu instid0(VALU_DEP_2) | instskip(NEXT) | instid1(VALU_DEP_2)
	v_fma_f64 v[45:46], v[11:12], v[7:8], v[23:24]
	v_fma_f64 v[47:48], v[13:14], v[7:8], -v[9:10]
	global_load_b128 v[7:10], v6, s[12:13] offset:64
	ds_load_b128 v[11:14], v34 offset:12480
	ds_load_b128 v[23:26], v34 offset:9984
	global_load_b128 v[27:30], v6, s[12:13] offset:80
	s_wait_loadcnt_dscnt 0x101
	v_mul_f64_e32 v[35:36], v[13:14], v[9:10]
	v_mul_f64_e32 v[9:10], v[11:12], v[9:10]
	s_delay_alu instid0(VALU_DEP_2) | instskip(NEXT) | instid1(VALU_DEP_2)
	v_fma_f64 v[49:50], v[11:12], v[7:8], v[35:36]
	v_fma_f64 v[51:52], v[13:14], v[7:8], -v[9:10]
	global_load_b128 v[7:10], v6, s[12:13] offset:112
	ds_load_b128 v[11:14], v34 offset:19968
	ds_load_b128 v[35:38], v34 offset:22464
	global_load_b128 v[39:42], v6, s[12:13] offset:96
	s_wait_loadcnt_dscnt 0x101
	v_mul_f64_e32 v[53:54], v[13:14], v[9:10]
	v_mul_f64_e32 v[9:10], v[11:12], v[9:10]
	s_delay_alu instid0(VALU_DEP_2) | instskip(NEXT) | instid1(VALU_DEP_2)
	v_fma_f64 v[53:54], v[11:12], v[7:8], v[53:54]
	v_fma_f64 v[55:56], v[13:14], v[7:8], -v[9:10]
	s_clause 0x1
	global_load_b128 v[7:10], v6, s[12:13] offset:48
	global_load_b128 v[11:14], v6, s[12:13] offset:32
	s_wait_loadcnt 0x1
	v_mul_f64_e32 v[57:58], v[25:26], v[9:10]
	v_mul_f64_e32 v[9:10], v[23:24], v[9:10]
	s_delay_alu instid0(VALU_DEP_2) | instskip(NEXT) | instid1(VALU_DEP_2)
	v_fma_f64 v[57:58], v[23:24], v[7:8], v[57:58]
	v_fma_f64 v[59:60], v[25:26], v[7:8], -v[9:10]
	s_clause 0x1
	global_load_b128 v[7:10], v6, s[12:13] offset:128
	global_load_b128 v[23:26], v6, s[12:13] offset:144
	s_wait_loadcnt_dscnt 0x100
	v_mul_f64_e32 v[61:62], v[37:38], v[9:10]
	v_mul_f64_e32 v[9:10], v[35:36], v[9:10]
	s_delay_alu instid0(VALU_DEP_2) | instskip(NEXT) | instid1(VALU_DEP_2)
	v_fma_f64 v[61:62], v[35:36], v[7:8], v[61:62]
	v_fma_f64 v[63:64], v[37:38], v[7:8], -v[9:10]
	ds_load_b128 v[6:9], v34 offset:7488
	ds_load_b128 v[35:38], v34 offset:4992
	s_wait_dscnt 0x1
	v_mul_f64_e32 v[65:66], v[8:9], v[13:14]
	s_delay_alu instid0(VALU_DEP_1) | instskip(SKIP_1) | instid1(VALU_DEP_1)
	v_fma_f64 v[65:66], v[6:7], v[11:12], v[65:66]
	v_mul_f64_e32 v[6:7], v[6:7], v[13:14]
	v_fma_f64 v[67:68], v[8:9], v[11:12], -v[6:7]
	ds_load_b128 v[6:9], v34 offset:24960
	ds_load_b128 v[10:13], v34 offset:27456
	s_wait_loadcnt_dscnt 0x1
	v_mul_f64_e32 v[69:70], v[8:9], v[25:26]
	s_delay_alu instid0(VALU_DEP_1) | instskip(SKIP_1) | instid1(VALU_DEP_1)
	v_fma_f64 v[69:70], v[6:7], v[23:24], v[69:70]
	v_mul_f64_e32 v[6:7], v[6:7], v[25:26]
	v_fma_f64 v[23:24], v[8:9], v[23:24], -v[6:7]
	v_mul_f64_e32 v[6:7], v[37:38], v[17:18]
	s_delay_alu instid0(VALU_DEP_1) | instskip(SKIP_2) | instid1(VALU_DEP_2)
	v_fma_f64 v[25:26], v[35:36], v[15:16], v[6:7]
	v_mul_f64_e32 v[6:7], v[35:36], v[17:18]
	v_add_f64_e32 v[35:36], v[43:44], v[47:48]
	v_fma_f64 v[14:15], v[37:38], v[15:16], -v[6:7]
	s_wait_dscnt 0x0
	v_mul_f64_e32 v[6:7], v[12:13], v[21:22]
	v_add_f64_e32 v[37:38], v[59:60], v[63:64]
	s_delay_alu instid0(VALU_DEP_2) | instskip(SKIP_2) | instid1(VALU_DEP_2)
	v_fma_f64 v[16:17], v[10:11], v[19:20], v[6:7]
	v_mul_f64_e32 v[6:7], v[10:11], v[21:22]
	v_mad_u32_u24 v22, 0xa9, v0, v5
	v_fma_f64 v[18:19], v[12:13], v[19:20], -v[6:7]
	ds_load_b128 v[6:9], v34 offset:14976
	ds_load_b128 v[10:13], v34 offset:17472
	s_wait_dscnt 0x1
	v_mul_f64_e32 v[20:21], v[8:9], v[29:30]
	s_delay_alu instid0(VALU_DEP_1) | instskip(SKIP_1) | instid1(VALU_DEP_1)
	v_fma_f64 v[20:21], v[6:7], v[27:28], v[20:21]
	v_mul_f64_e32 v[6:7], v[6:7], v[29:30]
	v_fma_f64 v[27:28], v[8:9], v[27:28], -v[6:7]
	s_wait_dscnt 0x0
	v_mul_f64_e32 v[6:7], v[12:13], v[41:42]
	s_delay_alu instid0(VALU_DEP_1) | instskip(SKIP_4) | instid1(VALU_DEP_4)
	v_fma_f64 v[29:30], v[10:11], v[39:40], v[6:7]
	v_mul_f64_e32 v[6:7], v[10:11], v[41:42]
	v_add_f64_e32 v[10:11], v[1:2], v[31:32]
	v_add_f64_e64 v[41:42], v[31:32], -v[45:46]
	v_add_f64_e32 v[31:32], v[31:32], v[45:46]
	v_fma_f64 v[12:13], v[12:13], v[39:40], -v[6:7]
	v_mad_co_u64_u32 v[6:7], null, s4, v33, 0
	v_add_f64_e32 v[10:11], v[10:11], v[25:26]
	v_add_f64_e64 v[39:40], v[59:60], -v[63:64]
	s_delay_alu instid0(VALU_DEP_3)
	v_mad_co_u64_u32 v[7:8], null, s5, v33, v[7:8]
	v_add_f64_e32 v[8:9], v[3:4], v[43:44]
	s_mul_u64 s[4:5], s[4:5], s[10:11]
	s_wait_alu 0xfffe
	s_lshl_b64 s[4:5], s[4:5], 4
	s_wait_alu 0xfffe
	s_add_nc_u64 s[0:1], s[0:1], s[4:5]
	s_delay_alu instid0(VALU_DEP_2)
	v_lshlrev_b64_e32 v[5:6], 4, v[6:7]
	s_lshl_b64 s[4:5], s[8:9], 4
	s_add_nc_u64 s[0:1], s[0:1], s[6:7]
	s_wait_alu 0xfffe
	s_add_nc_u64 s[0:1], s[0:1], s[4:5]
	s_delay_alu instid0(VALU_DEP_1) | instid1(SALU_CYCLE_1)
	v_add_co_u32 v0, vcc_lo, s0, v5
	v_mul_lo_u32 v5, v22, s2
	s_wait_alu 0xfffd
	v_add_co_ci_u32_e32 v7, vcc_lo, s1, v6, vcc_lo
	s_mul_i32 s0, s2, 13
	v_mov_b32_e32 v6, 0
	v_add_f64_e32 v[10:11], v[10:11], v[65:66]
	v_add_f64_e32 v[8:9], v[8:9], v[14:15]
	s_delay_alu instid0(VALU_DEP_2) | instskip(NEXT) | instid1(VALU_DEP_2)
	v_add_f64_e32 v[10:11], v[10:11], v[57:58]
	v_add_f64_e32 v[8:9], v[8:9], v[67:68]
	s_delay_alu instid0(VALU_DEP_2) | instskip(NEXT) | instid1(VALU_DEP_2)
	v_add_f64_e32 v[10:11], v[10:11], v[49:50]
	v_add_f64_e32 v[8:9], v[8:9], v[59:60]
	;; [unrolled: 1-line block ×3, first 2 shown]
	s_delay_alu instid0(VALU_DEP_3) | instskip(NEXT) | instid1(VALU_DEP_3)
	v_add_f64_e32 v[10:11], v[10:11], v[20:21]
	v_add_f64_e32 v[8:9], v[8:9], v[51:52]
	s_delay_alu instid0(VALU_DEP_2) | instskip(NEXT) | instid1(VALU_DEP_2)
	v_add_f64_e32 v[10:11], v[10:11], v[29:30]
	v_add_f64_e32 v[8:9], v[8:9], v[27:28]
	s_delay_alu instid0(VALU_DEP_2) | instskip(NEXT) | instid1(VALU_DEP_2)
	;; [unrolled: 3-line block ×5, first 2 shown]
	v_add_f64_e32 v[33:34], v[10:11], v[16:17]
	v_add_f64_e32 v[8:9], v[8:9], v[23:24]
	s_delay_alu instid0(VALU_DEP_1) | instskip(NEXT) | instid1(VALU_DEP_1)
	v_add_f64_e32 v[8:9], v[8:9], v[18:19]
	v_add_f64_e32 v[10:11], v[8:9], v[47:48]
	s_delay_alu instid0(VALU_DEP_4) | instskip(SKIP_4) | instid1(VALU_DEP_3)
	v_add_f64_e32 v[8:9], v[33:34], v[45:46]
	v_lshlrev_b64_e32 v[33:34], 4, v[5:6]
	s_wait_alu 0xfffe
	v_add_nc_u32_e32 v5, s0, v5
	v_add_f64_e32 v[45:46], v[57:58], v[61:62]
	v_add_co_u32 v33, vcc_lo, v0, v33
	s_wait_alu 0xfffd
	v_add_co_ci_u32_e32 v34, vcc_lo, v7, v34, vcc_lo
	global_store_b128 v[33:34], v[8:11], off
	v_add_f64_e64 v[33:34], v[43:44], -v[47:48]
	v_add_f64_e64 v[43:44], v[57:58], -v[61:62]
	v_add_f64_e32 v[47:48], v[14:15], v[18:19]
	v_add_f64_e64 v[14:15], v[14:15], -v[18:19]
	v_add_f64_e64 v[18:19], v[25:26], -v[16:17]
	v_add_f64_e32 v[61:62], v[27:28], v[12:13]
	;; [unrolled: 3-line block ×3, first 2 shown]
	v_add_f64_e32 v[29:30], v[51:52], v[55:56]
	v_add_f64_e64 v[51:52], v[51:52], -v[55:56]
	v_add_f64_e64 v[55:56], v[49:50], -v[53:54]
	v_add_f64_e32 v[49:50], v[49:50], v[53:54]
	v_mul_f64_e32 v[53:54], s[44:45], v[41:42]
	v_add_f64_e64 v[57:58], v[65:66], -v[69:70]
	v_add_f64_e32 v[16:17], v[25:26], v[16:17]
	v_add_f64_e32 v[25:26], v[67:68], v[23:24]
	v_add_f64_e64 v[22:23], v[67:68], -v[23:24]
	v_mul_f64_e32 v[65:66], s[44:45], v[33:34]
	v_mul_f64_e32 v[89:90], s[34:35], v[33:34]
	;; [unrolled: 1-line block ×13, first 2 shown]
	v_fma_f64 v[8:9], v[35:36], s[16:17], -v[53:54]
	v_mul_f64_e32 v[131:132], s[36:37], v[27:28]
	v_mul_f64_e32 v[133:134], s[36:37], v[12:13]
	;; [unrolled: 1-line block ×17, first 2 shown]
	v_fma_f64 v[69:70], v[16:17], s[18:19], v[67:68]
	v_fma_f64 v[10:11], v[47:48], s[18:19], -v[63:64]
	v_fma_f64 v[93:94], v[16:17], s[22:23], v[91:92]
	v_fma_f64 v[117:118], v[16:17], s[48:49], v[115:116]
	v_add_f64_e32 v[8:9], v[3:4], v[8:9]
	v_fma_f64 v[141:142], v[16:17], s[46:47], v[139:140]
	v_fma_f64 v[165:166], v[16:17], s[20:21], v[163:164]
	s_delay_alu instid0(VALU_DEP_3) | instskip(SKIP_1) | instid1(VALU_DEP_1)
	v_add_f64_e32 v[8:9], v[10:11], v[8:9]
	v_fma_f64 v[10:11], v[31:32], s[16:17], v[65:66]
	v_add_f64_e32 v[10:11], v[1:2], v[10:11]
	s_delay_alu instid0(VALU_DEP_1) | instskip(SKIP_1) | instid1(VALU_DEP_1)
	v_add_f64_e32 v[10:11], v[69:70], v[10:11]
	v_mul_f64_e32 v[69:70], s[38:39], v[57:58]
	v_fma_f64 v[71:72], v[25:26], s[20:21], -v[69:70]
	s_delay_alu instid0(VALU_DEP_1) | instskip(SKIP_1) | instid1(VALU_DEP_1)
	v_add_f64_e32 v[8:9], v[71:72], v[8:9]
	v_mul_f64_e32 v[71:72], s[38:39], v[22:23]
	v_fma_f64 v[73:74], v[59:60], s[20:21], v[71:72]
	s_delay_alu instid0(VALU_DEP_1) | instskip(SKIP_1) | instid1(VALU_DEP_1)
	v_add_f64_e32 v[10:11], v[73:74], v[10:11]
	v_mul_f64_e32 v[73:74], s[30:31], v[43:44]
	v_fma_f64 v[75:76], v[37:38], s[22:23], -v[73:74]
	s_delay_alu instid0(VALU_DEP_1) | instskip(SKIP_1) | instid1(VALU_DEP_1)
	v_add_f64_e32 v[8:9], v[75:76], v[8:9]
	v_mul_f64_e32 v[75:76], s[30:31], v[39:40]
	v_fma_f64 v[77:78], v[45:46], s[22:23], v[75:76]
	;; [unrolled: 8-line block ×3, first 2 shown]
	s_delay_alu instid0(VALU_DEP_1) | instskip(SKIP_1) | instid1(VALU_DEP_1)
	v_add_f64_e32 v[81:82], v[81:82], v[10:11]
	v_fma_f64 v[10:11], v[61:62], s[48:49], -v[83:84]
	v_add_f64_e32 v[10:11], v[10:11], v[8:9]
	v_fma_f64 v[8:9], v[20:21], s[48:49], v[85:86]
	s_delay_alu instid0(VALU_DEP_1) | instskip(SKIP_2) | instid1(VALU_DEP_2)
	v_add_f64_e32 v[8:9], v[8:9], v[81:82]
	v_lshlrev_b64_e32 v[81:82], 4, v[5:6]
	v_add_nc_u32_e32 v5, s0, v5
	v_add_co_u32 v81, vcc_lo, v0, v81
	s_wait_alu 0xfffd
	s_delay_alu instid0(VALU_DEP_3) | instskip(SKIP_3) | instid1(VALU_DEP_2)
	v_add_co_ci_u32_e32 v82, vcc_lo, v7, v82, vcc_lo
	global_store_b128 v[81:82], v[8:11], off
	v_mul_f64_e32 v[81:82], s[34:35], v[41:42]
	v_fma_f64 v[10:11], v[47:48], s[22:23], -v[87:88]
	v_fma_f64 v[8:9], v[35:36], s[18:19], -v[81:82]
	s_delay_alu instid0(VALU_DEP_1) | instskip(NEXT) | instid1(VALU_DEP_1)
	v_add_f64_e32 v[8:9], v[3:4], v[8:9]
	v_add_f64_e32 v[8:9], v[10:11], v[8:9]
	v_fma_f64 v[10:11], v[31:32], s[18:19], v[89:90]
	s_delay_alu instid0(VALU_DEP_1) | instskip(NEXT) | instid1(VALU_DEP_1)
	v_add_f64_e32 v[10:11], v[1:2], v[10:11]
	v_add_f64_e32 v[10:11], v[93:94], v[10:11]
	v_mul_f64_e32 v[93:94], s[40:41], v[57:58]
	s_delay_alu instid0(VALU_DEP_1) | instskip(NEXT) | instid1(VALU_DEP_1)
	v_fma_f64 v[95:96], v[25:26], s[48:49], -v[93:94]
	v_add_f64_e32 v[8:9], v[95:96], v[8:9]
	v_mul_f64_e32 v[95:96], s[40:41], v[22:23]
	s_delay_alu instid0(VALU_DEP_1) | instskip(NEXT) | instid1(VALU_DEP_1)
	v_fma_f64 v[97:98], v[59:60], s[48:49], v[95:96]
	v_add_f64_e32 v[10:11], v[97:98], v[10:11]
	v_mul_f64_e32 v[97:98], s[52:53], v[43:44]
	s_delay_alu instid0(VALU_DEP_1) | instskip(NEXT) | instid1(VALU_DEP_1)
	v_fma_f64 v[99:100], v[37:38], s[46:47], -v[97:98]
	v_add_f64_e32 v[8:9], v[99:100], v[8:9]
	v_mul_f64_e32 v[99:100], s[52:53], v[39:40]
	s_delay_alu instid0(VALU_DEP_1) | instskip(NEXT) | instid1(VALU_DEP_1)
	v_fma_f64 v[101:102], v[45:46], s[46:47], v[99:100]
	;; [unrolled: 8-line block ×3, first 2 shown]
	v_add_f64_e32 v[105:106], v[105:106], v[10:11]
	v_fma_f64 v[10:11], v[61:62], s[16:17], -v[107:108]
	s_delay_alu instid0(VALU_DEP_1) | instskip(SKIP_1) | instid1(VALU_DEP_1)
	v_add_f64_e32 v[10:11], v[10:11], v[8:9]
	v_fma_f64 v[8:9], v[20:21], s[16:17], v[109:110]
	v_add_f64_e32 v[8:9], v[8:9], v[105:106]
	v_lshlrev_b64_e32 v[105:106], 4, v[5:6]
	v_add_nc_u32_e32 v5, s0, v5
	s_delay_alu instid0(VALU_DEP_2) | instskip(SKIP_1) | instid1(VALU_DEP_3)
	v_add_co_u32 v105, vcc_lo, v0, v105
	s_wait_alu 0xfffd
	v_add_co_ci_u32_e32 v106, vcc_lo, v7, v106, vcc_lo
	global_store_b128 v[105:106], v[8:11], off
	v_mul_f64_e32 v[105:106], s[38:39], v[41:42]
	v_fma_f64 v[10:11], v[47:48], s[48:49], -v[111:112]
	s_delay_alu instid0(VALU_DEP_2) | instskip(NEXT) | instid1(VALU_DEP_1)
	v_fma_f64 v[8:9], v[35:36], s[20:21], -v[105:106]
	v_add_f64_e32 v[8:9], v[3:4], v[8:9]
	s_delay_alu instid0(VALU_DEP_1) | instskip(SKIP_1) | instid1(VALU_DEP_1)
	v_add_f64_e32 v[8:9], v[10:11], v[8:9]
	v_fma_f64 v[10:11], v[31:32], s[20:21], v[113:114]
	v_add_f64_e32 v[10:11], v[1:2], v[10:11]
	s_delay_alu instid0(VALU_DEP_1) | instskip(SKIP_1) | instid1(VALU_DEP_1)
	v_add_f64_e32 v[10:11], v[117:118], v[10:11]
	v_mul_f64_e32 v[117:118], s[42:43], v[57:58]
	v_fma_f64 v[119:120], v[25:26], s[22:23], -v[117:118]
	s_delay_alu instid0(VALU_DEP_1) | instskip(SKIP_1) | instid1(VALU_DEP_1)
	v_add_f64_e32 v[8:9], v[119:120], v[8:9]
	v_mul_f64_e32 v[119:120], s[42:43], v[22:23]
	v_fma_f64 v[121:122], v[59:60], s[22:23], v[119:120]
	s_delay_alu instid0(VALU_DEP_1) | instskip(SKIP_1) | instid1(VALU_DEP_1)
	v_add_f64_e32 v[10:11], v[121:122], v[10:11]
	v_mul_f64_e32 v[121:122], s[24:25], v[43:44]
	v_fma_f64 v[123:124], v[37:38], s[16:17], -v[121:122]
	s_delay_alu instid0(VALU_DEP_1) | instskip(SKIP_1) | instid1(VALU_DEP_1)
	v_add_f64_e32 v[8:9], v[123:124], v[8:9]
	v_mul_f64_e32 v[123:124], s[24:25], v[39:40]
	v_fma_f64 v[125:126], v[45:46], s[16:17], v[123:124]
	;; [unrolled: 8-line block ×3, first 2 shown]
	s_delay_alu instid0(VALU_DEP_1) | instskip(SKIP_1) | instid1(VALU_DEP_1)
	v_add_f64_e32 v[129:130], v[129:130], v[10:11]
	v_fma_f64 v[10:11], v[61:62], s[46:47], -v[131:132]
	v_add_f64_e32 v[10:11], v[10:11], v[8:9]
	v_fma_f64 v[8:9], v[20:21], s[46:47], v[133:134]
	s_delay_alu instid0(VALU_DEP_1) | instskip(SKIP_2) | instid1(VALU_DEP_2)
	v_add_f64_e32 v[8:9], v[8:9], v[129:130]
	v_lshlrev_b64_e32 v[129:130], 4, v[5:6]
	v_add_nc_u32_e32 v5, s0, v5
	v_add_co_u32 v129, vcc_lo, v0, v129
	s_wait_alu 0xfffd
	s_delay_alu instid0(VALU_DEP_3) | instskip(SKIP_3) | instid1(VALU_DEP_2)
	v_add_co_ci_u32_e32 v130, vcc_lo, v7, v130, vcc_lo
	global_store_b128 v[129:130], v[8:11], off
	v_mul_f64_e32 v[129:130], s[30:31], v[41:42]
	v_fma_f64 v[10:11], v[47:48], s[46:47], -v[135:136]
	v_fma_f64 v[8:9], v[35:36], s[22:23], -v[129:130]
	s_delay_alu instid0(VALU_DEP_1) | instskip(NEXT) | instid1(VALU_DEP_1)
	v_add_f64_e32 v[8:9], v[3:4], v[8:9]
	v_add_f64_e32 v[8:9], v[10:11], v[8:9]
	v_fma_f64 v[10:11], v[31:32], s[22:23], v[137:138]
	s_delay_alu instid0(VALU_DEP_1) | instskip(NEXT) | instid1(VALU_DEP_1)
	v_add_f64_e32 v[10:11], v[1:2], v[10:11]
	v_add_f64_e32 v[10:11], v[141:142], v[10:11]
	v_mul_f64_e32 v[141:142], s[24:25], v[57:58]
	s_delay_alu instid0(VALU_DEP_1) | instskip(NEXT) | instid1(VALU_DEP_1)
	v_fma_f64 v[143:144], v[25:26], s[16:17], -v[141:142]
	v_add_f64_e32 v[8:9], v[143:144], v[8:9]
	v_mul_f64_e32 v[143:144], s[24:25], v[22:23]
	s_delay_alu instid0(VALU_DEP_1) | instskip(NEXT) | instid1(VALU_DEP_1)
	v_fma_f64 v[145:146], v[59:60], s[16:17], v[143:144]
	v_add_f64_e32 v[10:11], v[145:146], v[10:11]
	v_mul_f64_e32 v[145:146], s[38:39], v[43:44]
	s_delay_alu instid0(VALU_DEP_1) | instskip(NEXT) | instid1(VALU_DEP_1)
	v_fma_f64 v[147:148], v[37:38], s[20:21], -v[145:146]
	v_add_f64_e32 v[8:9], v[147:148], v[8:9]
	v_mul_f64_e32 v[147:148], s[38:39], v[39:40]
	s_delay_alu instid0(VALU_DEP_1) | instskip(NEXT) | instid1(VALU_DEP_1)
	v_fma_f64 v[149:150], v[45:46], s[20:21], v[147:148]
	v_add_f64_e32 v[10:11], v[149:150], v[10:11]
	v_mul_f64_e32 v[149:150], s[50:51], v[55:56]
	s_delay_alu instid0(VALU_DEP_1) | instskip(NEXT) | instid1(VALU_DEP_1)
	v_fma_f64 v[151:152], v[29:30], s[48:49], -v[149:150]
	v_add_f64_e32 v[8:9], v[151:152], v[8:9]
	v_mul_f64_e32 v[151:152], s[50:51], v[51:52]
	s_delay_alu instid0(VALU_DEP_1) | instskip(NEXT) | instid1(VALU_DEP_1)
	v_fma_f64 v[153:154], v[49:50], s[48:49], v[151:152]
	v_add_f64_e32 v[153:154], v[153:154], v[10:11]
	v_fma_f64 v[10:11], v[61:62], s[18:19], -v[155:156]
	s_delay_alu instid0(VALU_DEP_1) | instskip(SKIP_1) | instid1(VALU_DEP_1)
	v_add_f64_e32 v[10:11], v[10:11], v[8:9]
	v_fma_f64 v[8:9], v[20:21], s[18:19], v[157:158]
	v_add_f64_e32 v[8:9], v[8:9], v[153:154]
	v_lshlrev_b64_e32 v[153:154], 4, v[5:6]
	v_add_nc_u32_e32 v5, s0, v5
	s_delay_alu instid0(VALU_DEP_2) | instskip(SKIP_1) | instid1(VALU_DEP_3)
	v_add_co_u32 v153, vcc_lo, v0, v153
	s_wait_alu 0xfffd
	v_add_co_ci_u32_e32 v154, vcc_lo, v7, v154, vcc_lo
	global_store_b128 v[153:154], v[8:11], off
	v_mul_f64_e32 v[153:154], s[36:37], v[41:42]
	v_fma_f64 v[10:11], v[47:48], s[20:21], -v[159:160]
	v_mul_f64_e32 v[41:42], s[40:41], v[41:42]
	s_delay_alu instid0(VALU_DEP_3) | instskip(NEXT) | instid1(VALU_DEP_1)
	v_fma_f64 v[8:9], v[35:36], s[46:47], -v[153:154]
	v_add_f64_e32 v[8:9], v[3:4], v[8:9]
	s_delay_alu instid0(VALU_DEP_1) | instskip(SKIP_1) | instid1(VALU_DEP_1)
	v_add_f64_e32 v[8:9], v[10:11], v[8:9]
	v_fma_f64 v[10:11], v[31:32], s[46:47], v[161:162]
	v_add_f64_e32 v[10:11], v[1:2], v[10:11]
	s_delay_alu instid0(VALU_DEP_1) | instskip(SKIP_2) | instid1(VALU_DEP_2)
	v_add_f64_e32 v[10:11], v[165:166], v[10:11]
	v_mul_f64_e32 v[165:166], s[34:35], v[57:58]
	v_mul_f64_e32 v[57:58], s[36:37], v[57:58]
	v_fma_f64 v[167:168], v[25:26], s[18:19], -v[165:166]
	s_delay_alu instid0(VALU_DEP_1) | instskip(SKIP_2) | instid1(VALU_DEP_2)
	v_add_f64_e32 v[8:9], v[167:168], v[8:9]
	v_mul_f64_e32 v[167:168], s[34:35], v[22:23]
	v_mul_f64_e32 v[22:23], s[36:37], v[22:23]
	v_fma_f64 v[169:170], v[59:60], s[18:19], v[167:168]
	s_delay_alu instid0(VALU_DEP_1) | instskip(SKIP_2) | instid1(VALU_DEP_2)
	v_add_f64_e32 v[10:11], v[169:170], v[10:11]
	v_mul_f64_e32 v[169:170], s[50:51], v[43:44]
	v_mul_f64_e32 v[43:44], s[26:27], v[43:44]
	v_fma_f64 v[171:172], v[37:38], s[48:49], -v[169:170]
	s_delay_alu instid0(VALU_DEP_1) | instskip(SKIP_2) | instid1(VALU_DEP_2)
	v_add_f64_e32 v[8:9], v[171:172], v[8:9]
	v_mul_f64_e32 v[171:172], s[50:51], v[39:40]
	v_mul_f64_e32 v[39:40], s[26:27], v[39:40]
	v_fma_f64 v[173:174], v[45:46], s[48:49], v[171:172]
	;; [unrolled: 10-line block ×3, first 2 shown]
	s_delay_alu instid0(VALU_DEP_1) | instskip(SKIP_1) | instid1(VALU_DEP_1)
	v_add_f64_e32 v[177:178], v[177:178], v[10:11]
	v_fma_f64 v[10:11], v[61:62], s[22:23], -v[179:180]
	v_add_f64_e32 v[10:11], v[10:11], v[8:9]
	v_fma_f64 v[8:9], v[20:21], s[22:23], v[181:182]
	s_delay_alu instid0(VALU_DEP_1) | instskip(SKIP_2) | instid1(VALU_DEP_2)
	v_add_f64_e32 v[8:9], v[8:9], v[177:178]
	v_lshlrev_b64_e32 v[177:178], 4, v[5:6]
	v_add_nc_u32_e32 v5, s0, v5
	v_add_co_u32 v177, vcc_lo, v0, v177
	s_wait_alu 0xfffd
	s_delay_alu instid0(VALU_DEP_3)
	v_add_co_ci_u32_e32 v178, vcc_lo, v7, v178, vcc_lo
	global_store_b128 v[177:178], v[8:11], off
	v_fma_f64 v[8:9], v[35:36], s[48:49], -v[41:42]
	v_fma_f64 v[10:11], v[47:48], s[16:17], -v[18:19]
	v_fma_f64 v[177:178], v[16:17], s[16:17], v[14:15]
	v_fma_f64 v[14:15], v[16:17], s[16:17], -v[14:15]
	s_delay_alu instid0(VALU_DEP_4) | instskip(NEXT) | instid1(VALU_DEP_1)
	v_add_f64_e32 v[8:9], v[3:4], v[8:9]
	v_add_f64_e32 v[8:9], v[10:11], v[8:9]
	v_fma_f64 v[10:11], v[31:32], s[48:49], v[33:34]
	s_delay_alu instid0(VALU_DEP_1) | instskip(NEXT) | instid1(VALU_DEP_1)
	v_add_f64_e32 v[10:11], v[1:2], v[10:11]
	v_add_f64_e32 v[10:11], v[177:178], v[10:11]
	v_fma_f64 v[177:178], v[25:26], s[46:47], -v[57:58]
	s_delay_alu instid0(VALU_DEP_1) | instskip(SKIP_1) | instid1(VALU_DEP_1)
	v_add_f64_e32 v[8:9], v[177:178], v[8:9]
	v_fma_f64 v[177:178], v[59:60], s[46:47], v[22:23]
	v_add_f64_e32 v[10:11], v[177:178], v[10:11]
	v_fma_f64 v[177:178], v[37:38], s[18:19], -v[43:44]
	s_delay_alu instid0(VALU_DEP_1) | instskip(SKIP_1) | instid1(VALU_DEP_1)
	v_add_f64_e32 v[8:9], v[177:178], v[8:9]
	v_fma_f64 v[177:178], v[45:46], s[18:19], v[39:40]
	;; [unrolled: 5-line block ×3, first 2 shown]
	v_add_f64_e32 v[177:178], v[177:178], v[10:11]
	v_fma_f64 v[10:11], v[61:62], s[20:21], -v[27:28]
	s_delay_alu instid0(VALU_DEP_1) | instskip(SKIP_2) | instid1(VALU_DEP_2)
	v_add_f64_e32 v[10:11], v[10:11], v[8:9]
	v_fma_f64 v[8:9], v[20:21], s[20:21], v[12:13]
	v_fma_f64 v[12:13], v[20:21], s[20:21], -v[12:13]
	v_add_f64_e32 v[8:9], v[8:9], v[177:178]
	v_lshlrev_b64_e32 v[177:178], 4, v[5:6]
	v_add_nc_u32_e32 v5, s0, v5
	s_delay_alu instid0(VALU_DEP_2) | instskip(SKIP_1) | instid1(VALU_DEP_3)
	v_add_co_u32 v177, vcc_lo, v0, v177
	s_wait_alu 0xfffd
	v_add_co_ci_u32_e32 v178, vcc_lo, v7, v178, vcc_lo
	global_store_b128 v[177:178], v[8:11], off
	v_fma_f64 v[8:9], v[35:36], s[48:49], v[41:42]
	v_fma_f64 v[10:11], v[47:48], s[16:17], v[18:19]
	v_fma_f64 v[18:19], v[31:32], s[18:19], -v[89:90]
	s_delay_alu instid0(VALU_DEP_3) | instskip(NEXT) | instid1(VALU_DEP_2)
	v_add_f64_e32 v[8:9], v[3:4], v[8:9]
	v_add_f64_e32 v[18:19], v[1:2], v[18:19]
	s_delay_alu instid0(VALU_DEP_2) | instskip(SKIP_1) | instid1(VALU_DEP_1)
	v_add_f64_e32 v[8:9], v[10:11], v[8:9]
	v_fma_f64 v[10:11], v[31:32], s[48:49], -v[33:34]
	v_add_f64_e32 v[10:11], v[1:2], v[10:11]
	s_delay_alu instid0(VALU_DEP_1) | instskip(SKIP_1) | instid1(VALU_DEP_1)
	v_add_f64_e32 v[10:11], v[14:15], v[10:11]
	v_fma_f64 v[14:15], v[25:26], s[46:47], v[57:58]
	v_add_f64_e32 v[8:9], v[14:15], v[8:9]
	v_fma_f64 v[14:15], v[59:60], s[46:47], -v[22:23]
	v_fma_f64 v[22:23], v[31:32], s[16:17], -v[65:66]
	s_delay_alu instid0(VALU_DEP_2) | instskip(SKIP_1) | instid1(VALU_DEP_3)
	v_add_f64_e32 v[10:11], v[14:15], v[10:11]
	v_fma_f64 v[14:15], v[37:38], s[18:19], v[43:44]
	v_add_f64_e32 v[22:23], v[1:2], v[22:23]
	s_delay_alu instid0(VALU_DEP_2) | instskip(SKIP_1) | instid1(VALU_DEP_1)
	v_add_f64_e32 v[8:9], v[14:15], v[8:9]
	v_fma_f64 v[14:15], v[45:46], s[18:19], -v[39:40]
	v_add_f64_e32 v[10:11], v[14:15], v[10:11]
	v_fma_f64 v[14:15], v[29:30], s[22:23], v[55:56]
	s_delay_alu instid0(VALU_DEP_1) | instskip(SKIP_1) | instid1(VALU_DEP_1)
	v_add_f64_e32 v[8:9], v[14:15], v[8:9]
	v_fma_f64 v[14:15], v[49:50], s[22:23], -v[51:52]
	v_add_f64_e32 v[14:15], v[14:15], v[10:11]
	v_fma_f64 v[10:11], v[61:62], s[20:21], v[27:28]
	s_delay_alu instid0(VALU_DEP_1) | instskip(NEXT) | instid1(VALU_DEP_3)
	v_add_f64_e32 v[10:11], v[10:11], v[8:9]
	v_add_f64_e32 v[8:9], v[12:13], v[14:15]
	v_lshlrev_b64_e32 v[12:13], 4, v[5:6]
	v_fma_f64 v[14:15], v[20:21], s[22:23], -v[181:182]
	v_add_nc_u32_e32 v5, s0, v5
	s_delay_alu instid0(VALU_DEP_3) | instskip(SKIP_1) | instid1(VALU_DEP_4)
	v_add_co_u32 v12, vcc_lo, v0, v12
	s_wait_alu 0xfffd
	v_add_co_ci_u32_e32 v13, vcc_lo, v7, v13, vcc_lo
	global_store_b128 v[12:13], v[8:11], off
	v_fma_f64 v[8:9], v[35:36], s[46:47], v[153:154]
	v_fma_f64 v[10:11], v[47:48], s[20:21], v[159:160]
	v_fma_f64 v[12:13], v[16:17], s[20:21], -v[163:164]
	s_delay_alu instid0(VALU_DEP_3) | instskip(NEXT) | instid1(VALU_DEP_1)
	v_add_f64_e32 v[8:9], v[3:4], v[8:9]
	v_add_f64_e32 v[8:9], v[10:11], v[8:9]
	v_fma_f64 v[10:11], v[31:32], s[46:47], -v[161:162]
	s_delay_alu instid0(VALU_DEP_1) | instskip(NEXT) | instid1(VALU_DEP_1)
	v_add_f64_e32 v[10:11], v[1:2], v[10:11]
	v_add_f64_e32 v[10:11], v[12:13], v[10:11]
	v_fma_f64 v[12:13], v[25:26], s[18:19], v[165:166]
	s_delay_alu instid0(VALU_DEP_1) | instskip(SKIP_1) | instid1(VALU_DEP_1)
	v_add_f64_e32 v[8:9], v[12:13], v[8:9]
	v_fma_f64 v[12:13], v[59:60], s[18:19], -v[167:168]
	v_add_f64_e32 v[10:11], v[12:13], v[10:11]
	v_fma_f64 v[12:13], v[37:38], s[48:49], v[169:170]
	s_delay_alu instid0(VALU_DEP_1) | instskip(SKIP_1) | instid1(VALU_DEP_1)
	v_add_f64_e32 v[8:9], v[12:13], v[8:9]
	v_fma_f64 v[12:13], v[45:46], s[48:49], -v[171:172]
	;; [unrolled: 5-line block ×3, first 2 shown]
	v_add_f64_e32 v[12:13], v[12:13], v[10:11]
	v_fma_f64 v[10:11], v[61:62], s[22:23], v[179:180]
	s_delay_alu instid0(VALU_DEP_1) | instskip(NEXT) | instid1(VALU_DEP_3)
	v_add_f64_e32 v[10:11], v[10:11], v[8:9]
	v_add_f64_e32 v[8:9], v[14:15], v[12:13]
	v_lshlrev_b64_e32 v[12:13], 4, v[5:6]
	v_fma_f64 v[14:15], v[20:21], s[18:19], -v[157:158]
	v_add_nc_u32_e32 v5, s0, v5
	s_delay_alu instid0(VALU_DEP_3) | instskip(SKIP_1) | instid1(VALU_DEP_4)
	v_add_co_u32 v12, vcc_lo, v0, v12
	s_wait_alu 0xfffd
	v_add_co_ci_u32_e32 v13, vcc_lo, v7, v13, vcc_lo
	global_store_b128 v[12:13], v[8:11], off
	v_fma_f64 v[8:9], v[35:36], s[22:23], v[129:130]
	v_fma_f64 v[10:11], v[47:48], s[46:47], v[135:136]
	v_fma_f64 v[12:13], v[16:17], s[46:47], -v[139:140]
	s_delay_alu instid0(VALU_DEP_3) | instskip(NEXT) | instid1(VALU_DEP_1)
	v_add_f64_e32 v[8:9], v[3:4], v[8:9]
	v_add_f64_e32 v[8:9], v[10:11], v[8:9]
	v_fma_f64 v[10:11], v[31:32], s[22:23], -v[137:138]
	s_delay_alu instid0(VALU_DEP_1) | instskip(NEXT) | instid1(VALU_DEP_1)
	v_add_f64_e32 v[10:11], v[1:2], v[10:11]
	v_add_f64_e32 v[10:11], v[12:13], v[10:11]
	v_fma_f64 v[12:13], v[25:26], s[16:17], v[141:142]
	s_delay_alu instid0(VALU_DEP_1) | instskip(SKIP_1) | instid1(VALU_DEP_1)
	v_add_f64_e32 v[8:9], v[12:13], v[8:9]
	v_fma_f64 v[12:13], v[59:60], s[16:17], -v[143:144]
	v_add_f64_e32 v[10:11], v[12:13], v[10:11]
	v_fma_f64 v[12:13], v[37:38], s[20:21], v[145:146]
	s_delay_alu instid0(VALU_DEP_1) | instskip(SKIP_1) | instid1(VALU_DEP_1)
	v_add_f64_e32 v[8:9], v[12:13], v[8:9]
	v_fma_f64 v[12:13], v[45:46], s[20:21], -v[147:148]
	;; [unrolled: 5-line block ×3, first 2 shown]
	v_add_f64_e32 v[12:13], v[12:13], v[10:11]
	v_fma_f64 v[10:11], v[61:62], s[18:19], v[155:156]
	s_delay_alu instid0(VALU_DEP_1) | instskip(NEXT) | instid1(VALU_DEP_3)
	v_add_f64_e32 v[10:11], v[10:11], v[8:9]
	v_add_f64_e32 v[8:9], v[14:15], v[12:13]
	v_lshlrev_b64_e32 v[12:13], 4, v[5:6]
	v_fma_f64 v[14:15], v[31:32], s[20:21], -v[113:114]
	v_add_nc_u32_e32 v5, s0, v5
	s_delay_alu instid0(VALU_DEP_3) | instskip(SKIP_1) | instid1(VALU_DEP_4)
	v_add_co_u32 v12, vcc_lo, v0, v12
	s_wait_alu 0xfffd
	v_add_co_ci_u32_e32 v13, vcc_lo, v7, v13, vcc_lo
	global_store_b128 v[12:13], v[8:11], off
	v_fma_f64 v[8:9], v[35:36], s[20:21], v[105:106]
	v_fma_f64 v[10:11], v[35:36], s[18:19], v[81:82]
	;; [unrolled: 1-line block ×3, first 2 shown]
	v_add_f64_e32 v[14:15], v[1:2], v[14:15]
	v_fma_f64 v[1:2], v[47:48], s[48:49], v[111:112]
	v_add_f64_e32 v[8:9], v[3:4], v[8:9]
	v_add_f64_e32 v[10:11], v[3:4], v[10:11]
	v_add_f64_e32 v[12:13], v[3:4], v[12:13]
	v_fma_f64 v[3:4], v[16:17], s[48:49], -v[115:116]
	s_delay_alu instid0(VALU_DEP_4) | instskip(SKIP_1) | instid1(VALU_DEP_3)
	v_add_f64_e32 v[1:2], v[1:2], v[8:9]
	v_fma_f64 v[8:9], v[25:26], s[22:23], v[117:118]
	v_add_f64_e32 v[3:4], v[3:4], v[14:15]
	v_fma_f64 v[14:15], v[20:21], s[46:47], -v[133:134]
	s_delay_alu instid0(VALU_DEP_3) | instskip(SKIP_1) | instid1(VALU_DEP_1)
	v_add_f64_e32 v[1:2], v[8:9], v[1:2]
	v_fma_f64 v[8:9], v[59:60], s[22:23], -v[119:120]
	v_add_f64_e32 v[3:4], v[8:9], v[3:4]
	v_fma_f64 v[8:9], v[37:38], s[16:17], v[121:122]
	s_delay_alu instid0(VALU_DEP_1) | instskip(SKIP_1) | instid1(VALU_DEP_1)
	v_add_f64_e32 v[1:2], v[8:9], v[1:2]
	v_fma_f64 v[8:9], v[45:46], s[16:17], -v[123:124]
	v_add_f64_e32 v[3:4], v[8:9], v[3:4]
	v_fma_f64 v[8:9], v[29:30], s[18:19], v[125:126]
	s_delay_alu instid0(VALU_DEP_1) | instskip(SKIP_1) | instid1(VALU_DEP_1)
	v_add_f64_e32 v[1:2], v[8:9], v[1:2]
	v_fma_f64 v[8:9], v[49:50], s[18:19], -v[127:128]
	v_add_f64_e32 v[8:9], v[8:9], v[3:4]
	v_fma_f64 v[3:4], v[61:62], s[46:47], v[131:132]
	s_delay_alu instid0(VALU_DEP_1) | instskip(NEXT) | instid1(VALU_DEP_3)
	v_add_f64_e32 v[3:4], v[3:4], v[1:2]
	v_add_f64_e32 v[1:2], v[14:15], v[8:9]
	v_fma_f64 v[8:9], v[47:48], s[22:23], v[87:88]
	v_fma_f64 v[14:15], v[25:26], s[48:49], v[93:94]
	s_delay_alu instid0(VALU_DEP_2) | instskip(SKIP_2) | instid1(VALU_DEP_3)
	v_add_f64_e32 v[8:9], v[8:9], v[10:11]
	v_fma_f64 v[10:11], v[16:17], s[22:23], -v[91:92]
	v_fma_f64 v[16:17], v[16:17], s[18:19], -v[67:68]
	v_add_f64_e32 v[8:9], v[14:15], v[8:9]
	s_delay_alu instid0(VALU_DEP_3) | instskip(SKIP_3) | instid1(VALU_DEP_3)
	v_add_f64_e32 v[10:11], v[10:11], v[18:19]
	v_fma_f64 v[14:15], v[59:60], s[48:49], -v[95:96]
	v_fma_f64 v[18:19], v[20:21], s[16:17], -v[109:110]
	;; [unrolled: 1-line block ×3, first 2 shown]
	v_add_f64_e32 v[10:11], v[14:15], v[10:11]
	v_fma_f64 v[14:15], v[37:38], s[46:47], v[97:98]
	s_delay_alu instid0(VALU_DEP_1) | instskip(SKIP_1) | instid1(VALU_DEP_1)
	v_add_f64_e32 v[8:9], v[14:15], v[8:9]
	v_fma_f64 v[14:15], v[45:46], s[46:47], -v[99:100]
	v_add_f64_e32 v[10:11], v[14:15], v[10:11]
	v_fma_f64 v[14:15], v[29:30], s[20:21], v[101:102]
	s_delay_alu instid0(VALU_DEP_1) | instskip(SKIP_1) | instid1(VALU_DEP_1)
	v_add_f64_e32 v[8:9], v[14:15], v[8:9]
	v_fma_f64 v[14:15], v[49:50], s[20:21], -v[103:104]
	v_add_f64_e32 v[14:15], v[14:15], v[10:11]
	v_fma_f64 v[10:11], v[61:62], s[16:17], v[107:108]
	s_delay_alu instid0(VALU_DEP_1) | instskip(NEXT) | instid1(VALU_DEP_3)
	v_add_f64_e32 v[10:11], v[10:11], v[8:9]
	v_add_f64_e32 v[8:9], v[18:19], v[14:15]
	v_fma_f64 v[14:15], v[47:48], s[18:19], v[63:64]
	v_fma_f64 v[18:19], v[25:26], s[20:21], v[69:70]
	v_fma_f64 v[24:25], v[59:60], s[20:21], -v[71:72]
	s_delay_alu instid0(VALU_DEP_3) | instskip(SKIP_3) | instid1(VALU_DEP_4)
	v_add_f64_e32 v[12:13], v[14:15], v[12:13]
	v_add_f64_e32 v[14:15], v[16:17], v[22:23]
	v_fma_f64 v[16:17], v[37:38], s[22:23], v[73:74]
	v_fma_f64 v[22:23], v[45:46], s[22:23], -v[75:76]
	v_add_f64_e32 v[12:13], v[18:19], v[12:13]
	s_delay_alu instid0(VALU_DEP_4) | instskip(SKIP_2) | instid1(VALU_DEP_4)
	v_add_f64_e32 v[14:15], v[24:25], v[14:15]
	v_fma_f64 v[18:19], v[29:30], s[46:47], v[77:78]
	v_fma_f64 v[24:25], v[49:50], s[46:47], -v[79:80]
	v_add_f64_e32 v[12:13], v[16:17], v[12:13]
	s_delay_alu instid0(VALU_DEP_4) | instskip(SKIP_1) | instid1(VALU_DEP_3)
	v_add_f64_e32 v[14:15], v[22:23], v[14:15]
	v_fma_f64 v[16:17], v[61:62], s[48:49], v[83:84]
	v_add_f64_e32 v[12:13], v[18:19], v[12:13]
	s_delay_alu instid0(VALU_DEP_3) | instskip(NEXT) | instid1(VALU_DEP_2)
	v_add_f64_e32 v[18:19], v[24:25], v[14:15]
	v_add_f64_e32 v[14:15], v[16:17], v[12:13]
	s_delay_alu instid0(VALU_DEP_2) | instskip(SKIP_2) | instid1(VALU_DEP_1)
	v_add_f64_e32 v[12:13], v[20:21], v[18:19]
	v_lshlrev_b64_e32 v[16:17], 4, v[5:6]
	v_add_nc_u32_e32 v5, s0, v5
	v_lshlrev_b64_e32 v[18:19], 4, v[5:6]
	v_add_nc_u32_e32 v5, s0, v5
	s_delay_alu instid0(VALU_DEP_4) | instskip(SKIP_2) | instid1(VALU_DEP_3)
	v_add_co_u32 v16, vcc_lo, v0, v16
	s_wait_alu 0xfffd
	v_add_co_ci_u32_e32 v17, vcc_lo, v7, v17, vcc_lo
	v_lshlrev_b64_e32 v[5:6], 4, v[5:6]
	v_add_co_u32 v18, vcc_lo, v0, v18
	s_wait_alu 0xfffd
	v_add_co_ci_u32_e32 v19, vcc_lo, v7, v19, vcc_lo
	s_delay_alu instid0(VALU_DEP_3)
	v_add_co_u32 v5, vcc_lo, v0, v5
	s_wait_alu 0xfffd
	v_add_co_ci_u32_e32 v6, vcc_lo, v7, v6, vcc_lo
	s_clause 0x2
	global_store_b128 v[16:17], v[1:4], off
	global_store_b128 v[18:19], v[8:11], off
	;; [unrolled: 1-line block ×3, first 2 shown]
.LBB0_8:
	s_nop 0
	s_sendmsg sendmsg(MSG_DEALLOC_VGPRS)
	s_endpgm
	.section	.rodata,"a",@progbits
	.p2align	6, 0x0
	.amdhsa_kernel fft_rtc_back_len169_factors_13_13_wgs_156_tpt_13_dp_op_CI_CI_sbrc_z_xy_unaligned_dirReg
		.amdhsa_group_segment_fixed_size 0
		.amdhsa_private_segment_fixed_size 0
		.amdhsa_kernarg_size 104
		.amdhsa_user_sgpr_count 2
		.amdhsa_user_sgpr_dispatch_ptr 0
		.amdhsa_user_sgpr_queue_ptr 0
		.amdhsa_user_sgpr_kernarg_segment_ptr 1
		.amdhsa_user_sgpr_dispatch_id 0
		.amdhsa_user_sgpr_private_segment_size 0
		.amdhsa_wavefront_size32 1
		.amdhsa_uses_dynamic_stack 0
		.amdhsa_enable_private_segment 0
		.amdhsa_system_sgpr_workgroup_id_x 1
		.amdhsa_system_sgpr_workgroup_id_y 0
		.amdhsa_system_sgpr_workgroup_id_z 0
		.amdhsa_system_sgpr_workgroup_info 0
		.amdhsa_system_vgpr_workitem_id 0
		.amdhsa_next_free_vgpr 236
		.amdhsa_next_free_sgpr 54
		.amdhsa_reserve_vcc 1
		.amdhsa_float_round_mode_32 0
		.amdhsa_float_round_mode_16_64 0
		.amdhsa_float_denorm_mode_32 3
		.amdhsa_float_denorm_mode_16_64 3
		.amdhsa_fp16_overflow 0
		.amdhsa_workgroup_processor_mode 1
		.amdhsa_memory_ordered 1
		.amdhsa_forward_progress 0
		.amdhsa_round_robin_scheduling 0
		.amdhsa_exception_fp_ieee_invalid_op 0
		.amdhsa_exception_fp_denorm_src 0
		.amdhsa_exception_fp_ieee_div_zero 0
		.amdhsa_exception_fp_ieee_overflow 0
		.amdhsa_exception_fp_ieee_underflow 0
		.amdhsa_exception_fp_ieee_inexact 0
		.amdhsa_exception_int_div_zero 0
	.end_amdhsa_kernel
	.text
.Lfunc_end0:
	.size	fft_rtc_back_len169_factors_13_13_wgs_156_tpt_13_dp_op_CI_CI_sbrc_z_xy_unaligned_dirReg, .Lfunc_end0-fft_rtc_back_len169_factors_13_13_wgs_156_tpt_13_dp_op_CI_CI_sbrc_z_xy_unaligned_dirReg
                                        ; -- End function
	.section	.AMDGPU.csdata,"",@progbits
; Kernel info:
; codeLenInByte = 10160
; NumSgprs: 56
; NumVgprs: 236
; ScratchSize: 0
; MemoryBound: 0
; FloatMode: 240
; IeeeMode: 1
; LDSByteSize: 0 bytes/workgroup (compile time only)
; SGPRBlocks: 6
; VGPRBlocks: 29
; NumSGPRsForWavesPerEU: 56
; NumVGPRsForWavesPerEU: 236
; Occupancy: 6
; WaveLimiterHint : 1
; COMPUTE_PGM_RSRC2:SCRATCH_EN: 0
; COMPUTE_PGM_RSRC2:USER_SGPR: 2
; COMPUTE_PGM_RSRC2:TRAP_HANDLER: 0
; COMPUTE_PGM_RSRC2:TGID_X_EN: 1
; COMPUTE_PGM_RSRC2:TGID_Y_EN: 0
; COMPUTE_PGM_RSRC2:TGID_Z_EN: 0
; COMPUTE_PGM_RSRC2:TIDIG_COMP_CNT: 0
	.text
	.p2alignl 7, 3214868480
	.fill 96, 4, 3214868480
	.type	__hip_cuid_92f866865f451d90,@object ; @__hip_cuid_92f866865f451d90
	.section	.bss,"aw",@nobits
	.globl	__hip_cuid_92f866865f451d90
__hip_cuid_92f866865f451d90:
	.byte	0                               ; 0x0
	.size	__hip_cuid_92f866865f451d90, 1

	.ident	"AMD clang version 19.0.0git (https://github.com/RadeonOpenCompute/llvm-project roc-6.4.0 25133 c7fe45cf4b819c5991fe208aaa96edf142730f1d)"
	.section	".note.GNU-stack","",@progbits
	.addrsig
	.addrsig_sym __hip_cuid_92f866865f451d90
	.amdgpu_metadata
---
amdhsa.kernels:
  - .args:
      - .actual_access:  read_only
        .address_space:  global
        .offset:         0
        .size:           8
        .value_kind:     global_buffer
      - .offset:         8
        .size:           8
        .value_kind:     by_value
      - .actual_access:  read_only
        .address_space:  global
        .offset:         16
        .size:           8
        .value_kind:     global_buffer
      - .actual_access:  read_only
        .address_space:  global
        .offset:         24
        .size:           8
        .value_kind:     global_buffer
      - .actual_access:  read_only
        .address_space:  global
        .offset:         32
        .size:           8
        .value_kind:     global_buffer
      - .offset:         40
        .size:           8
        .value_kind:     by_value
      - .actual_access:  read_only
        .address_space:  global
        .offset:         48
        .size:           8
        .value_kind:     global_buffer
      - .actual_access:  read_only
        .address_space:  global
        .offset:         56
        .size:           8
        .value_kind:     global_buffer
      - .offset:         64
        .size:           4
        .value_kind:     by_value
      - .actual_access:  read_only
        .address_space:  global
        .offset:         72
        .size:           8
        .value_kind:     global_buffer
      - .actual_access:  read_only
        .address_space:  global
        .offset:         80
        .size:           8
        .value_kind:     global_buffer
      - .actual_access:  read_only
        .address_space:  global
        .offset:         88
        .size:           8
        .value_kind:     global_buffer
      - .actual_access:  write_only
        .address_space:  global
        .offset:         96
        .size:           8
        .value_kind:     global_buffer
    .group_segment_fixed_size: 0
    .kernarg_segment_align: 8
    .kernarg_segment_size: 104
    .language:       OpenCL C
    .language_version:
      - 2
      - 0
    .max_flat_workgroup_size: 156
    .name:           fft_rtc_back_len169_factors_13_13_wgs_156_tpt_13_dp_op_CI_CI_sbrc_z_xy_unaligned_dirReg
    .private_segment_fixed_size: 0
    .sgpr_count:     56
    .sgpr_spill_count: 0
    .symbol:         fft_rtc_back_len169_factors_13_13_wgs_156_tpt_13_dp_op_CI_CI_sbrc_z_xy_unaligned_dirReg.kd
    .uniform_work_group_size: 1
    .uses_dynamic_stack: false
    .vgpr_count:     236
    .vgpr_spill_count: 0
    .wavefront_size: 32
    .workgroup_processor_mode: 1
amdhsa.target:   amdgcn-amd-amdhsa--gfx1201
amdhsa.version:
  - 1
  - 2
...

	.end_amdgpu_metadata
